;; amdgpu-corpus repo=LLNL/RAJAPerf kind=compiled arch=gfx1030 opt=O3
	.amdgcn_target "amdgcn-amd-amdhsa--gfx1030"
	.amdhsa_code_object_version 6
	.section	.text._ZN8rajaperf4apps8Mass3DEAILm64EEEvPdS2_S2_,"axG",@progbits,_ZN8rajaperf4apps8Mass3DEAILm64EEEvPdS2_S2_,comdat
	.protected	_ZN8rajaperf4apps8Mass3DEAILm64EEEvPdS2_S2_ ; -- Begin function _ZN8rajaperf4apps8Mass3DEAILm64EEEvPdS2_S2_
	.globl	_ZN8rajaperf4apps8Mass3DEAILm64EEEvPdS2_S2_
	.p2align	8
	.type	_ZN8rajaperf4apps8Mass3DEAILm64EEEvPdS2_S2_,@function
_ZN8rajaperf4apps8Mass3DEAILm64EEEvPdS2_S2_: ; @_ZN8rajaperf4apps8Mass3DEAILm64EEEvPdS2_S2_
; %bb.0:
	s_clause 0x1
	s_load_dwordx4 s[8:11], s[4:5], 0x0
	s_load_dwordx2 s[4:5], s[4:5], 0x10
	v_mov_b32_e32 v3, v1
	v_cmp_eq_u32_e32 vcc_lo, 0, v2
	s_mov_b32 s7, 0
	s_and_saveexec_b32 s2, vcc_lo
	s_cbranch_execz .LBB0_4
; %bb.1:
	v_cmp_gt_u32_e64 s0, 4, v0
	v_cmp_gt_u32_e64 s1, 5, v3
	s_and_b32 s0, s0, s1
	s_and_b32 exec_lo, exec_lo, s0
	s_cbranch_execz .LBB0_4
; %bb.2:
	v_mov_b32_e32 v4, 0
	v_mul_u32_u24_e32 v1, 40, v0
	s_mov_b32 s1, exec_lo
	v_lshlrev_b64 v[6:7], 3, v[3:4]
	s_waitcnt lgkmcnt(0)
	v_add_co_u32 v4, s0, s8, v1
	v_add_co_ci_u32_e64 v5, null, s9, 0, s0
	v_lshl_add_u32 v1, v0, 3, 0x3f0
	v_add_co_u32 v6, s0, v4, v6
	v_add_co_ci_u32_e64 v7, null, v5, v7, s0
	v_lshl_add_u32 v8, v3, 5, v1
	global_load_dwordx2 v[6:7], v[6:7], off
	s_waitcnt vmcnt(0)
	ds_write_b64 v8, v[6:7]
	v_cmpx_eq_u32_e32 0, v3
	s_xor_b32 s1, exec_lo, s1
	s_cbranch_execz .LBB0_4
; %bb.3:
	global_load_dwordx2 v[4:5], v[4:5], off offset:32
	s_waitcnt vmcnt(0)
	ds_write_b64 v1, v[4:5] offset:128
.LBB0_4:
	s_or_b32 exec_lo, exec_lo, s2
	v_mov_b32_e32 v1, 0
	s_mov_b32 s3, exec_lo
	v_cmpx_gt_u32_e32 5, v0
	s_cbranch_execz .LBB0_13
; %bb.5:
	v_mov_b32_e32 v6, v1
	v_mov_b32_e32 v4, v1
	v_cmp_gt_u32_e64 s0, 5, v3
	v_cmp_gt_u32_e64 s1, 5, v2
	s_waitcnt lgkmcnt(0)
	s_mul_i32 s8, s6, 0x3e8
	v_mul_u32_u24_e32 v13, 0xc8, v2
	v_mov_b32_e32 v5, v0
	s_mul_hi_u32 s2, s6, 0x3e8
	s_add_u32 s8, s10, s8
	s_addc_u32 s9, s11, s2
	s_mov_b32 s10, 0
	s_branch .LBB0_7
.LBB0_6:                                ;   in Loop: Header=BB0_7 Depth=1
	s_inst_prefetch 0x2
	s_or_b32 exec_lo, exec_lo, s11
	v_cmp_ne_u64_e64 s2, 0, v[5:6]
	v_mov_b32_e32 v5, 4
	v_mov_b32_e32 v6, 0
	s_or_b32 s10, s2, s10
	s_andn2_b32 exec_lo, exec_lo, s10
	s_cbranch_execz .LBB0_13
.LBB0_7:                                ; =>This Loop Header: Depth=1
                                        ;     Child Loop BB0_10 Depth 2
	s_and_saveexec_b32 s11, s0
	s_cbranch_execz .LBB0_6
; %bb.8:                                ;   in Loop: Header=BB0_7 Depth=1
	v_lshlrev_b64 v[7:8], 3, v[5:6]
	v_mul_lo_u32 v1, 0xc8, v5
	s_mov_b32 s12, 0
	v_add_co_u32 v14, s2, s8, v7
	v_add_co_ci_u32_e64 v15, null, s9, v8, s2
	v_mov_b32_e32 v8, v4
	v_mov_b32_e32 v7, v3
	s_inst_prefetch 0x1
	s_branch .LBB0_10
	.p2align	6
.LBB0_9:                                ;   in Loop: Header=BB0_10 Depth=2
	s_or_b32 exec_lo, exec_lo, s13
	v_cmp_ne_u64_e64 s2, 0, v[7:8]
	v_mov_b32_e32 v7, 4
	v_mov_b32_e32 v8, 0
	s_or_b32 s12, s2, s12
	s_andn2_b32 exec_lo, exec_lo, s12
	s_cbranch_execz .LBB0_6
.LBB0_10:                               ;   Parent Loop BB0_7 Depth=1
                                        ; =>  This Inner Loop Header: Depth=2
	s_and_saveexec_b32 s13, s1
	s_cbranch_execz .LBB0_9
; %bb.11:                               ;   in Loop: Header=BB0_10 Depth=2
	v_mul_i32_i24_e32 v9, 40, v7
	v_mul_hi_i32_i24_e32 v10, 40, v7
	v_add_co_u32 v9, s2, v14, v9
	v_add_co_ci_u32_e64 v10, null, v15, v10, s2
	v_add_co_u32 v11, s2, v9, v13
	v_add_co_ci_u32_e64 v12, null, 0, v10, s2
	global_load_dwordx2 v[16:17], v[11:12], off
	v_mad_u64_u32 v[11:12], null, v7, 40, v[1:2]
	v_lshl_add_u32 v12, v2, 3, v11
	s_waitcnt vmcnt(0)
	ds_write_b64 v12, v[16:17]
	s_and_b32 exec_lo, exec_lo, vcc_lo
	s_cbranch_execz .LBB0_9
; %bb.12:                               ;   in Loop: Header=BB0_10 Depth=2
	global_load_dwordx2 v[9:10], v[9:10], off offset:800
	s_waitcnt vmcnt(0)
	ds_write_b64 v11, v[9:10] offset:32
	s_branch .LBB0_9
.LBB0_13:
	s_or_b32 exec_lo, exec_lo, s3
	s_waitcnt lgkmcnt(0)
	s_barrier
	buffer_gl0_inv
	s_mov_b32 s0, exec_lo
	v_cmpx_gt_u32_e32 4, v0
	s_cbranch_execz .LBB0_33
; %bb.14:
	v_or_b32_e32 v1, v3, v2
	v_cmp_gt_u32_e32 vcc_lo, 4, v1
	s_and_b32 exec_lo, exec_lo, vcc_lo
	s_cbranch_execz .LBB0_33
; %bb.15:
	v_lshlrev_b32_e32 v19, 3, v2
	v_lshlrev_b32_e32 v20, 3, v3
	v_mov_b32_e32 v55, 0
	v_lshlrev_b32_e32 v59, 5, v3
	v_lshlrev_b32_e32 v1, 3, v0
	ds_read2_b64 v[3:6], v19 offset0:134 offset1:138
	ds_read2_b64 v[7:10], v19 offset0:126 offset1:130
	;; [unrolled: 1-line block ×4, first 2 shown]
	ds_read_b64 v[67:68], v19 offset:1136
	ds_read_b64 v[69:70], v20 offset:1136
	ds_read_b128 v[19:22], v55 offset:1008
	ds_read_b128 v[23:26], v55 offset:1024
	;; [unrolled: 1-line block ×10, first 2 shown]
	v_lshlrev_b32_e32 v2, 7, v2
	v_lshl_add_u32 v77, v0, 3, 0x3f0
	s_movk_i32 s10, 0x3f0
	v_add_co_u32 v1, s0, s4, v1
	v_add_co_ci_u32_e64 v60, null, s5, 0, s0
	s_lshl_b64 s[0:1], s[6:7], 15
	v_add_co_u32 v73, vcc_lo, v1, v59
	v_add_co_ci_u32_e64 v74, null, 0, v60, vcc_lo
	s_mov_b64 s[2:3], 0
	v_add_co_u32 v1, vcc_lo, v73, s0
	v_add_co_ci_u32_e64 v59, null, s1, v74, vcc_lo
	v_add_co_u32 v75, vcc_lo, v1, v2
	v_add_co_ci_u32_e64 v76, null, 0, v59, vcc_lo
.LBB0_16:                               ; =>This Loop Header: Depth=1
                                        ;     Child Loop BB0_17 Depth 2
                                        ;       Child Loop BB0_18 Depth 3
                                        ;     Child Loop BB0_21 Depth 2
                                        ;       Child Loop BB0_22 Depth 3
	;; [unrolled: 2-line block ×4, first 2 shown]
	s_lshl_b64 s[4:5], s[2:3], 9
	s_mov_b64 s[6:7], 0
	v_add_co_u32 v78, vcc_lo, v75, s4
	v_add_co_ci_u32_e64 v79, null, s5, v76, vcc_lo
.LBB0_17:                               ;   Parent Loop BB0_16 Depth=1
                                        ; =>  This Loop Header: Depth=2
                                        ;       Child Loop BB0_18 Depth 3
	s_lshl_b32 s8, s6, 3
	v_mov_b32_e32 v71, 0
	v_mov_b32_e32 v0, s8
	;; [unrolled: 1-line block ×4, first 2 shown]
	s_mov_b64 s[8:9], 5
	s_mov_b32 s11, 0
	ds_read2_b64 v[59:62], v0 offset0:126 offset1:130
	ds_read2_b64 v[63:66], v0 offset0:134 offset1:138
	ds_read_b64 v[0:1], v0 offset:1136
	s_mov_b32 s12, s10
.LBB0_18:                               ;   Parent Loop BB0_16 Depth=1
                                        ;     Parent Loop BB0_17 Depth=2
                                        ; =>    This Inner Loop Header: Depth=3
	v_mov_b32_e32 v83, s12
	ds_read_b64 v[81:82], v80
	v_mov_b32_e32 v91, s11
	s_add_u32 s8, s8, -1
	v_add_nc_u32_e32 v80, 32, v80
	ds_read_b64 v[83:84], v83
	s_addc_u32 s9, s9, -1
	s_addk_i32 s11, 0xc8
	s_add_i32 s12, s12, 32
	s_cmp_lg_u64 s[8:9], 0
	s_waitcnt lgkmcnt(0)
	v_mul_f64 v[85:86], v[81:82], v[83:84]
	v_mul_f64 v[81:82], v[85:86], v[11:12]
	;; [unrolled: 1-line block ×5, first 2 shown]
	ds_read2_b64 v[81:84], v91 offset1:1
	s_waitcnt lgkmcnt(0)
	v_fma_f64 v[71:72], v[89:90], v[81:82], v[71:72]
	v_mul_f64 v[81:82], v[87:88], v[9:10]
	v_mul_f64 v[81:82], v[81:82], v[61:62]
	v_fma_f64 v[71:72], v[81:82], v[83:84], v[71:72]
	v_mul_f64 v[81:82], v[87:88], v[3:4]
	v_mul_f64 v[89:90], v[81:82], v[63:64]
	ds_read2_b64 v[81:84], v91 offset0:2 offset1:3
	s_waitcnt lgkmcnt(0)
	v_fma_f64 v[71:72], v[89:90], v[81:82], v[71:72]
	v_mul_f64 v[81:82], v[87:88], v[5:6]
	v_mul_f64 v[81:82], v[81:82], v[65:66]
	v_fma_f64 v[71:72], v[81:82], v[83:84], v[71:72]
	v_mul_f64 v[81:82], v[87:88], v[67:68]
	v_mul_f64 v[87:88], v[81:82], v[0:1]
	ds_read2_b64 v[81:84], v91 offset0:4 offset1:5
	s_waitcnt lgkmcnt(0)
	v_fma_f64 v[71:72], v[87:88], v[81:82], v[71:72]
	v_mul_f64 v[81:82], v[85:86], v[13:14]
	v_mul_f64 v[87:88], v[81:82], v[27:28]
	;; [unrolled: 1-line block ×4, first 2 shown]
	v_fma_f64 v[71:72], v[81:82], v[83:84], v[71:72]
	v_mul_f64 v[81:82], v[87:88], v[9:10]
	v_mul_f64 v[89:90], v[81:82], v[61:62]
	ds_read2_b64 v[81:84], v91 offset0:6 offset1:7
	s_waitcnt lgkmcnt(0)
	v_fma_f64 v[71:72], v[89:90], v[81:82], v[71:72]
	v_mul_f64 v[81:82], v[87:88], v[3:4]
	v_mul_f64 v[81:82], v[81:82], v[63:64]
	v_fma_f64 v[71:72], v[81:82], v[83:84], v[71:72]
	v_mul_f64 v[81:82], v[87:88], v[5:6]
	v_mul_f64 v[89:90], v[81:82], v[65:66]
	ds_read2_b64 v[81:84], v91 offset0:8 offset1:9
	s_waitcnt lgkmcnt(0)
	v_fma_f64 v[71:72], v[89:90], v[81:82], v[71:72]
	v_mul_f64 v[81:82], v[87:88], v[67:68]
	v_mul_f64 v[81:82], v[81:82], v[0:1]
	v_fma_f64 v[71:72], v[81:82], v[83:84], v[71:72]
	v_mul_f64 v[81:82], v[85:86], v[15:16]
	v_mul_f64 v[87:88], v[81:82], v[35:36]
	;; [unrolled: 1-line block ×4, first 2 shown]
	ds_read2_b64 v[81:84], v91 offset0:10 offset1:11
	s_waitcnt lgkmcnt(0)
	v_fma_f64 v[71:72], v[89:90], v[81:82], v[71:72]
	v_mul_f64 v[81:82], v[87:88], v[9:10]
	v_mul_f64 v[81:82], v[81:82], v[61:62]
	v_fma_f64 v[71:72], v[81:82], v[83:84], v[71:72]
	v_mul_f64 v[81:82], v[87:88], v[3:4]
	v_mul_f64 v[89:90], v[81:82], v[63:64]
	ds_read2_b64 v[81:84], v91 offset0:12 offset1:13
	s_waitcnt lgkmcnt(0)
	v_fma_f64 v[71:72], v[89:90], v[81:82], v[71:72]
	v_mul_f64 v[81:82], v[87:88], v[5:6]
	v_mul_f64 v[81:82], v[81:82], v[65:66]
	v_fma_f64 v[71:72], v[81:82], v[83:84], v[71:72]
	v_mul_f64 v[81:82], v[87:88], v[67:68]
	v_mul_f64 v[87:88], v[81:82], v[0:1]
	ds_read2_b64 v[81:84], v91 offset0:14 offset1:15
	s_waitcnt lgkmcnt(0)
	v_fma_f64 v[71:72], v[87:88], v[81:82], v[71:72]
	v_mul_f64 v[81:82], v[85:86], v[17:18]
	v_mul_f64 v[87:88], v[81:82], v[43:44]
	;; [unrolled: 1-line block ×4, first 2 shown]
	v_fma_f64 v[71:72], v[81:82], v[83:84], v[71:72]
	v_mul_f64 v[81:82], v[87:88], v[9:10]
	v_mul_f64 v[89:90], v[81:82], v[61:62]
	ds_read2_b64 v[81:84], v91 offset0:16 offset1:17
	s_waitcnt lgkmcnt(0)
	v_fma_f64 v[71:72], v[89:90], v[81:82], v[71:72]
	v_mul_f64 v[81:82], v[87:88], v[3:4]
	v_mul_f64 v[81:82], v[81:82], v[63:64]
	v_fma_f64 v[71:72], v[81:82], v[83:84], v[71:72]
	v_mul_f64 v[81:82], v[87:88], v[5:6]
	v_mul_f64 v[89:90], v[81:82], v[65:66]
	ds_read2_b64 v[81:84], v91 offset0:18 offset1:19
	s_waitcnt lgkmcnt(0)
	v_fma_f64 v[71:72], v[89:90], v[81:82], v[71:72]
	v_mul_f64 v[81:82], v[87:88], v[67:68]
	v_mul_f64 v[81:82], v[81:82], v[0:1]
	v_fma_f64 v[71:72], v[81:82], v[83:84], v[71:72]
	v_mul_f64 v[81:82], v[85:86], v[69:70]
	v_mul_f64 v[85:86], v[81:82], v[51:52]
	;; [unrolled: 1-line block ×4, first 2 shown]
	ds_read2_b64 v[81:84], v91 offset0:20 offset1:21
	s_waitcnt lgkmcnt(0)
	v_fma_f64 v[71:72], v[87:88], v[81:82], v[71:72]
	v_mul_f64 v[81:82], v[85:86], v[9:10]
	v_mul_f64 v[81:82], v[81:82], v[61:62]
	v_fma_f64 v[71:72], v[81:82], v[83:84], v[71:72]
	v_mul_f64 v[81:82], v[85:86], v[3:4]
	v_mul_f64 v[87:88], v[81:82], v[63:64]
	ds_read2_b64 v[81:84], v91 offset0:22 offset1:23
	s_waitcnt lgkmcnt(0)
	v_fma_f64 v[71:72], v[87:88], v[81:82], v[71:72]
	v_mul_f64 v[81:82], v[85:86], v[5:6]
	v_mul_f64 v[81:82], v[81:82], v[65:66]
	v_fma_f64 v[71:72], v[81:82], v[83:84], v[71:72]
	v_mul_f64 v[81:82], v[85:86], v[67:68]
	ds_read_b64 v[83:84], v91 offset:192
	v_mul_f64 v[81:82], v[81:82], v[0:1]
	s_waitcnt lgkmcnt(0)
	v_fma_f64 v[71:72], v[81:82], v[83:84], v[71:72]
	s_cbranch_scc1 .LBB0_18
; %bb.19:                               ;   in Loop: Header=BB0_17 Depth=2
	s_lshl_b64 s[8:9], s[6:7], 13
	s_add_u32 s6, s6, 1
	v_add_co_u32 v0, vcc_lo, v78, s8
	v_add_co_ci_u32_e64 v1, null, s9, v79, vcc_lo
	s_addc_u32 s7, s7, 0
	s_cmp_eq_u64 s[6:7], 4
	global_store_dwordx2 v[0:1], v[71:72], off
	s_cbranch_scc0 .LBB0_17
; %bb.20:                               ;   in Loop: Header=BB0_16 Depth=1
	s_mov_b64 s[6:7], 0
.LBB0_21:                               ;   Parent Loop BB0_16 Depth=1
                                        ; =>  This Loop Header: Depth=2
                                        ;       Child Loop BB0_22 Depth 3
	s_lshl_b32 s8, s6, 3
	v_mov_b32_e32 v71, 0
	v_mov_b32_e32 v0, s8
	v_mov_b32_e32 v72, 0
	s_mov_b64 s[8:9], 5
	s_mov_b32 s11, 0
	s_mov_b32 s12, 0
	ds_read2_b64 v[59:62], v0 offset0:126 offset1:130
	ds_read2_b64 v[63:66], v0 offset0:134 offset1:138
	ds_read_b64 v[0:1], v0 offset:1136
.LBB0_22:                               ;   Parent Loop BB0_16 Depth=1
                                        ;     Parent Loop BB0_21 Depth=2
                                        ; =>    This Inner Loop Header: Depth=3
	s_add_i32 s13, s10, s11
	v_add_nc_u32_e32 v78, s11, v77
	v_mov_b32_e32 v80, s13
	v_mov_b32_e32 v88, s12
	s_add_u32 s8, s8, -1
	s_addc_u32 s9, s9, -1
	ds_read_b64 v[78:79], v78
	ds_read_b64 v[80:81], v80
	s_addk_i32 s12, 0xc8
	s_add_i32 s11, s11, 32
	s_cmp_lg_u64 s[8:9], 0
	s_waitcnt lgkmcnt(0)
	v_mul_f64 v[82:83], v[78:79], v[80:81]
	v_mul_f64 v[78:79], v[82:83], v[11:12]
	;; [unrolled: 1-line block ×5, first 2 shown]
	ds_read2_b64 v[78:81], v88 offset1:1
	s_waitcnt lgkmcnt(0)
	v_fma_f64 v[71:72], v[86:87], v[78:79], v[71:72]
	v_mul_f64 v[78:79], v[84:85], v[9:10]
	v_mul_f64 v[78:79], v[78:79], v[61:62]
	v_fma_f64 v[71:72], v[78:79], v[80:81], v[71:72]
	v_mul_f64 v[78:79], v[84:85], v[3:4]
	v_mul_f64 v[86:87], v[78:79], v[63:64]
	ds_read2_b64 v[78:81], v88 offset0:2 offset1:3
	s_waitcnt lgkmcnt(0)
	v_fma_f64 v[71:72], v[86:87], v[78:79], v[71:72]
	v_mul_f64 v[78:79], v[84:85], v[5:6]
	v_mul_f64 v[78:79], v[78:79], v[65:66]
	v_fma_f64 v[71:72], v[78:79], v[80:81], v[71:72]
	v_mul_f64 v[78:79], v[84:85], v[67:68]
	v_mul_f64 v[84:85], v[78:79], v[0:1]
	ds_read2_b64 v[78:81], v88 offset0:4 offset1:5
	s_waitcnt lgkmcnt(0)
	v_fma_f64 v[71:72], v[84:85], v[78:79], v[71:72]
	v_mul_f64 v[78:79], v[82:83], v[13:14]
	v_mul_f64 v[84:85], v[78:79], v[29:30]
	;; [unrolled: 1-line block ×4, first 2 shown]
	v_fma_f64 v[71:72], v[78:79], v[80:81], v[71:72]
	v_mul_f64 v[78:79], v[84:85], v[9:10]
	v_mul_f64 v[86:87], v[78:79], v[61:62]
	ds_read2_b64 v[78:81], v88 offset0:6 offset1:7
	s_waitcnt lgkmcnt(0)
	v_fma_f64 v[71:72], v[86:87], v[78:79], v[71:72]
	v_mul_f64 v[78:79], v[84:85], v[3:4]
	v_mul_f64 v[78:79], v[78:79], v[63:64]
	v_fma_f64 v[71:72], v[78:79], v[80:81], v[71:72]
	v_mul_f64 v[78:79], v[84:85], v[5:6]
	v_mul_f64 v[86:87], v[78:79], v[65:66]
	ds_read2_b64 v[78:81], v88 offset0:8 offset1:9
	s_waitcnt lgkmcnt(0)
	v_fma_f64 v[71:72], v[86:87], v[78:79], v[71:72]
	v_mul_f64 v[78:79], v[84:85], v[67:68]
	v_mul_f64 v[78:79], v[78:79], v[0:1]
	v_fma_f64 v[71:72], v[78:79], v[80:81], v[71:72]
	v_mul_f64 v[78:79], v[82:83], v[15:16]
	v_mul_f64 v[84:85], v[78:79], v[37:38]
	;; [unrolled: 1-line block ×4, first 2 shown]
	ds_read2_b64 v[78:81], v88 offset0:10 offset1:11
	s_waitcnt lgkmcnt(0)
	v_fma_f64 v[71:72], v[86:87], v[78:79], v[71:72]
	v_mul_f64 v[78:79], v[84:85], v[9:10]
	v_mul_f64 v[78:79], v[78:79], v[61:62]
	v_fma_f64 v[71:72], v[78:79], v[80:81], v[71:72]
	v_mul_f64 v[78:79], v[84:85], v[3:4]
	v_mul_f64 v[86:87], v[78:79], v[63:64]
	ds_read2_b64 v[78:81], v88 offset0:12 offset1:13
	s_waitcnt lgkmcnt(0)
	v_fma_f64 v[71:72], v[86:87], v[78:79], v[71:72]
	v_mul_f64 v[78:79], v[84:85], v[5:6]
	v_mul_f64 v[78:79], v[78:79], v[65:66]
	v_fma_f64 v[71:72], v[78:79], v[80:81], v[71:72]
	v_mul_f64 v[78:79], v[84:85], v[67:68]
	v_mul_f64 v[84:85], v[78:79], v[0:1]
	ds_read2_b64 v[78:81], v88 offset0:14 offset1:15
	s_waitcnt lgkmcnt(0)
	v_fma_f64 v[71:72], v[84:85], v[78:79], v[71:72]
	v_mul_f64 v[78:79], v[82:83], v[17:18]
	v_mul_f64 v[84:85], v[78:79], v[45:46]
	;; [unrolled: 1-line block ×4, first 2 shown]
	v_fma_f64 v[71:72], v[78:79], v[80:81], v[71:72]
	v_mul_f64 v[78:79], v[84:85], v[9:10]
	v_mul_f64 v[86:87], v[78:79], v[61:62]
	ds_read2_b64 v[78:81], v88 offset0:16 offset1:17
	s_waitcnt lgkmcnt(0)
	v_fma_f64 v[71:72], v[86:87], v[78:79], v[71:72]
	v_mul_f64 v[78:79], v[84:85], v[3:4]
	v_mul_f64 v[78:79], v[78:79], v[63:64]
	v_fma_f64 v[71:72], v[78:79], v[80:81], v[71:72]
	v_mul_f64 v[78:79], v[84:85], v[5:6]
	v_mul_f64 v[86:87], v[78:79], v[65:66]
	ds_read2_b64 v[78:81], v88 offset0:18 offset1:19
	s_waitcnt lgkmcnt(0)
	v_fma_f64 v[71:72], v[86:87], v[78:79], v[71:72]
	v_mul_f64 v[78:79], v[84:85], v[67:68]
	v_mul_f64 v[78:79], v[78:79], v[0:1]
	v_fma_f64 v[71:72], v[78:79], v[80:81], v[71:72]
	v_mul_f64 v[78:79], v[82:83], v[69:70]
	v_mul_f64 v[82:83], v[78:79], v[53:54]
	;; [unrolled: 1-line block ×4, first 2 shown]
	ds_read2_b64 v[78:81], v88 offset0:20 offset1:21
	s_waitcnt lgkmcnt(0)
	v_fma_f64 v[71:72], v[84:85], v[78:79], v[71:72]
	v_mul_f64 v[78:79], v[82:83], v[9:10]
	v_mul_f64 v[78:79], v[78:79], v[61:62]
	v_fma_f64 v[71:72], v[78:79], v[80:81], v[71:72]
	v_mul_f64 v[78:79], v[82:83], v[3:4]
	v_mul_f64 v[84:85], v[78:79], v[63:64]
	ds_read2_b64 v[78:81], v88 offset0:22 offset1:23
	s_waitcnt lgkmcnt(0)
	v_fma_f64 v[71:72], v[84:85], v[78:79], v[71:72]
	v_mul_f64 v[78:79], v[82:83], v[5:6]
	v_mul_f64 v[78:79], v[78:79], v[65:66]
	v_fma_f64 v[71:72], v[78:79], v[80:81], v[71:72]
	v_mul_f64 v[78:79], v[82:83], v[67:68]
	ds_read_b64 v[80:81], v88 offset:192
	v_mul_f64 v[78:79], v[78:79], v[0:1]
	s_waitcnt lgkmcnt(0)
	v_fma_f64 v[71:72], v[78:79], v[80:81], v[71:72]
	s_cbranch_scc1 .LBB0_22
; %bb.23:                               ;   in Loop: Header=BB0_21 Depth=2
	s_lshl_b64 s[8:9], s[6:7], 13
	s_add_u32 s6, s6, 1
	v_add_co_u32 v0, vcc_lo, v73, s8
	v_add_co_ci_u32_e64 v1, null, s9, v74, vcc_lo
	s_addc_u32 s7, s7, 0
	v_add_co_u32 v0, vcc_lo, v0, s0
	v_add_co_ci_u32_e64 v1, null, s1, v1, vcc_lo
	s_cmp_lg_u64 s[6:7], 4
	v_add_co_u32 v0, vcc_lo, v0, s4
	v_add_co_ci_u32_e64 v1, null, s5, v1, vcc_lo
	v_add_co_u32 v0, vcc_lo, v0, v2
	v_add_co_ci_u32_e64 v1, null, 0, v1, vcc_lo
	;; [unrolled: 2-line block ×3, first 2 shown]
	global_store_dwordx2 v[0:1], v[71:72], off
	s_cbranch_scc1 .LBB0_21
; %bb.24:                               ;   in Loop: Header=BB0_16 Depth=1
	s_mov_b64 s[6:7], 0
.LBB0_25:                               ;   Parent Loop BB0_16 Depth=1
                                        ; =>  This Loop Header: Depth=2
                                        ;       Child Loop BB0_26 Depth 3
	s_lshl_b32 s8, s6, 3
	v_mov_b32_e32 v71, 0
	v_mov_b32_e32 v0, s8
	;; [unrolled: 1-line block ×3, first 2 shown]
	s_mov_b64 s[8:9], 5
	s_mov_b32 s11, 0
	s_mov_b32 s12, 0
	ds_read2_b64 v[59:62], v0 offset0:126 offset1:130
	ds_read2_b64 v[63:66], v0 offset0:134 offset1:138
	ds_read_b64 v[0:1], v0 offset:1136
.LBB0_26:                               ;   Parent Loop BB0_16 Depth=1
                                        ;     Parent Loop BB0_25 Depth=2
                                        ; =>    This Inner Loop Header: Depth=3
	s_add_i32 s13, s10, s11
	v_add_nc_u32_e32 v78, s11, v77
	v_mov_b32_e32 v80, s13
	v_mov_b32_e32 v88, s12
	s_add_u32 s8, s8, -1
	s_addc_u32 s9, s9, -1
	ds_read_b64 v[78:79], v78
	ds_read_b64 v[80:81], v80
	s_addk_i32 s12, 0xc8
	s_add_i32 s11, s11, 32
	s_cmp_lg_u64 s[8:9], 0
	s_waitcnt lgkmcnt(0)
	v_mul_f64 v[82:83], v[78:79], v[80:81]
	v_mul_f64 v[78:79], v[82:83], v[11:12]
	;; [unrolled: 1-line block ×5, first 2 shown]
	ds_read2_b64 v[78:81], v88 offset1:1
	s_waitcnt lgkmcnt(0)
	v_fma_f64 v[71:72], v[86:87], v[78:79], v[71:72]
	v_mul_f64 v[78:79], v[84:85], v[9:10]
	v_mul_f64 v[78:79], v[78:79], v[61:62]
	v_fma_f64 v[71:72], v[78:79], v[80:81], v[71:72]
	v_mul_f64 v[78:79], v[84:85], v[3:4]
	v_mul_f64 v[86:87], v[78:79], v[63:64]
	ds_read2_b64 v[78:81], v88 offset0:2 offset1:3
	s_waitcnt lgkmcnt(0)
	v_fma_f64 v[71:72], v[86:87], v[78:79], v[71:72]
	v_mul_f64 v[78:79], v[84:85], v[5:6]
	v_mul_f64 v[78:79], v[78:79], v[65:66]
	v_fma_f64 v[71:72], v[78:79], v[80:81], v[71:72]
	v_mul_f64 v[78:79], v[84:85], v[67:68]
	v_mul_f64 v[84:85], v[78:79], v[0:1]
	ds_read2_b64 v[78:81], v88 offset0:4 offset1:5
	s_waitcnt lgkmcnt(0)
	v_fma_f64 v[71:72], v[84:85], v[78:79], v[71:72]
	v_mul_f64 v[78:79], v[82:83], v[13:14]
	v_mul_f64 v[84:85], v[78:79], v[31:32]
	;; [unrolled: 1-line block ×4, first 2 shown]
	v_fma_f64 v[71:72], v[78:79], v[80:81], v[71:72]
	v_mul_f64 v[78:79], v[84:85], v[9:10]
	v_mul_f64 v[86:87], v[78:79], v[61:62]
	ds_read2_b64 v[78:81], v88 offset0:6 offset1:7
	s_waitcnt lgkmcnt(0)
	v_fma_f64 v[71:72], v[86:87], v[78:79], v[71:72]
	v_mul_f64 v[78:79], v[84:85], v[3:4]
	v_mul_f64 v[78:79], v[78:79], v[63:64]
	v_fma_f64 v[71:72], v[78:79], v[80:81], v[71:72]
	v_mul_f64 v[78:79], v[84:85], v[5:6]
	v_mul_f64 v[86:87], v[78:79], v[65:66]
	ds_read2_b64 v[78:81], v88 offset0:8 offset1:9
	s_waitcnt lgkmcnt(0)
	v_fma_f64 v[71:72], v[86:87], v[78:79], v[71:72]
	v_mul_f64 v[78:79], v[84:85], v[67:68]
	v_mul_f64 v[78:79], v[78:79], v[0:1]
	v_fma_f64 v[71:72], v[78:79], v[80:81], v[71:72]
	v_mul_f64 v[78:79], v[82:83], v[15:16]
	v_mul_f64 v[84:85], v[78:79], v[39:40]
	;; [unrolled: 1-line block ×4, first 2 shown]
	ds_read2_b64 v[78:81], v88 offset0:10 offset1:11
	s_waitcnt lgkmcnt(0)
	v_fma_f64 v[71:72], v[86:87], v[78:79], v[71:72]
	v_mul_f64 v[78:79], v[84:85], v[9:10]
	v_mul_f64 v[78:79], v[78:79], v[61:62]
	v_fma_f64 v[71:72], v[78:79], v[80:81], v[71:72]
	v_mul_f64 v[78:79], v[84:85], v[3:4]
	v_mul_f64 v[86:87], v[78:79], v[63:64]
	ds_read2_b64 v[78:81], v88 offset0:12 offset1:13
	s_waitcnt lgkmcnt(0)
	v_fma_f64 v[71:72], v[86:87], v[78:79], v[71:72]
	v_mul_f64 v[78:79], v[84:85], v[5:6]
	v_mul_f64 v[78:79], v[78:79], v[65:66]
	v_fma_f64 v[71:72], v[78:79], v[80:81], v[71:72]
	v_mul_f64 v[78:79], v[84:85], v[67:68]
	v_mul_f64 v[84:85], v[78:79], v[0:1]
	ds_read2_b64 v[78:81], v88 offset0:14 offset1:15
	s_waitcnt lgkmcnt(0)
	v_fma_f64 v[71:72], v[84:85], v[78:79], v[71:72]
	v_mul_f64 v[78:79], v[82:83], v[17:18]
	v_mul_f64 v[84:85], v[78:79], v[47:48]
	;; [unrolled: 1-line block ×4, first 2 shown]
	v_fma_f64 v[71:72], v[78:79], v[80:81], v[71:72]
	v_mul_f64 v[78:79], v[84:85], v[9:10]
	v_mul_f64 v[86:87], v[78:79], v[61:62]
	ds_read2_b64 v[78:81], v88 offset0:16 offset1:17
	s_waitcnt lgkmcnt(0)
	v_fma_f64 v[71:72], v[86:87], v[78:79], v[71:72]
	v_mul_f64 v[78:79], v[84:85], v[3:4]
	v_mul_f64 v[78:79], v[78:79], v[63:64]
	v_fma_f64 v[71:72], v[78:79], v[80:81], v[71:72]
	v_mul_f64 v[78:79], v[84:85], v[5:6]
	v_mul_f64 v[86:87], v[78:79], v[65:66]
	ds_read2_b64 v[78:81], v88 offset0:18 offset1:19
	s_waitcnt lgkmcnt(0)
	v_fma_f64 v[71:72], v[86:87], v[78:79], v[71:72]
	v_mul_f64 v[78:79], v[84:85], v[67:68]
	v_mul_f64 v[78:79], v[78:79], v[0:1]
	v_fma_f64 v[71:72], v[78:79], v[80:81], v[71:72]
	v_mul_f64 v[78:79], v[82:83], v[69:70]
	v_mul_f64 v[82:83], v[78:79], v[55:56]
	;; [unrolled: 1-line block ×4, first 2 shown]
	ds_read2_b64 v[78:81], v88 offset0:20 offset1:21
	s_waitcnt lgkmcnt(0)
	v_fma_f64 v[71:72], v[84:85], v[78:79], v[71:72]
	v_mul_f64 v[78:79], v[82:83], v[9:10]
	v_mul_f64 v[78:79], v[78:79], v[61:62]
	v_fma_f64 v[71:72], v[78:79], v[80:81], v[71:72]
	v_mul_f64 v[78:79], v[82:83], v[3:4]
	v_mul_f64 v[84:85], v[78:79], v[63:64]
	ds_read2_b64 v[78:81], v88 offset0:22 offset1:23
	s_waitcnt lgkmcnt(0)
	v_fma_f64 v[71:72], v[84:85], v[78:79], v[71:72]
	v_mul_f64 v[78:79], v[82:83], v[5:6]
	v_mul_f64 v[78:79], v[78:79], v[65:66]
	v_fma_f64 v[71:72], v[78:79], v[80:81], v[71:72]
	v_mul_f64 v[78:79], v[82:83], v[67:68]
	ds_read_b64 v[80:81], v88 offset:192
	v_mul_f64 v[78:79], v[78:79], v[0:1]
	s_waitcnt lgkmcnt(0)
	v_fma_f64 v[71:72], v[78:79], v[80:81], v[71:72]
	s_cbranch_scc1 .LBB0_26
; %bb.27:                               ;   in Loop: Header=BB0_25 Depth=2
	s_lshl_b64 s[8:9], s[6:7], 13
	s_add_u32 s6, s6, 1
	v_add_co_u32 v0, vcc_lo, v73, s8
	v_add_co_ci_u32_e64 v1, null, s9, v74, vcc_lo
	s_addc_u32 s7, s7, 0
	v_add_co_u32 v0, vcc_lo, v0, s0
	v_add_co_ci_u32_e64 v1, null, s1, v1, vcc_lo
	s_cmp_lg_u64 s[6:7], 4
	v_add_co_u32 v0, vcc_lo, v0, s4
	v_add_co_ci_u32_e64 v1, null, s5, v1, vcc_lo
	v_add_co_u32 v0, vcc_lo, v0, v2
	v_add_co_ci_u32_e64 v1, null, 0, v1, vcc_lo
	;; [unrolled: 2-line block ×3, first 2 shown]
	global_store_dwordx2 v[0:1], v[71:72], off
	s_cbranch_scc1 .LBB0_25
; %bb.28:                               ;   in Loop: Header=BB0_16 Depth=1
	s_mov_b64 s[6:7], 0
.LBB0_29:                               ;   Parent Loop BB0_16 Depth=1
                                        ; =>  This Loop Header: Depth=2
                                        ;       Child Loop BB0_30 Depth 3
	s_lshl_b32 s8, s6, 3
	v_mov_b32_e32 v71, 0
	v_mov_b32_e32 v0, s8
	;; [unrolled: 1-line block ×3, first 2 shown]
	s_mov_b64 s[8:9], 5
	s_mov_b32 s11, 0
	s_mov_b32 s12, 0
	ds_read2_b64 v[59:62], v0 offset0:126 offset1:130
	ds_read2_b64 v[63:66], v0 offset0:134 offset1:138
	ds_read_b64 v[0:1], v0 offset:1136
.LBB0_30:                               ;   Parent Loop BB0_16 Depth=1
                                        ;     Parent Loop BB0_29 Depth=2
                                        ; =>    This Inner Loop Header: Depth=3
	s_add_i32 s13, s10, s11
	v_add_nc_u32_e32 v78, s11, v77
	v_mov_b32_e32 v80, s13
	v_mov_b32_e32 v88, s12
	s_add_u32 s8, s8, -1
	s_addc_u32 s9, s9, -1
	ds_read_b64 v[78:79], v78
	ds_read_b64 v[80:81], v80
	s_addk_i32 s12, 0xc8
	s_add_i32 s11, s11, 32
	s_cmp_lg_u64 s[8:9], 0
	s_waitcnt lgkmcnt(0)
	v_mul_f64 v[82:83], v[78:79], v[80:81]
	v_mul_f64 v[78:79], v[82:83], v[11:12]
	;; [unrolled: 1-line block ×5, first 2 shown]
	ds_read2_b64 v[78:81], v88 offset1:1
	s_waitcnt lgkmcnt(0)
	v_fma_f64 v[71:72], v[86:87], v[78:79], v[71:72]
	v_mul_f64 v[78:79], v[84:85], v[9:10]
	v_mul_f64 v[78:79], v[78:79], v[61:62]
	v_fma_f64 v[71:72], v[78:79], v[80:81], v[71:72]
	v_mul_f64 v[78:79], v[84:85], v[3:4]
	v_mul_f64 v[86:87], v[78:79], v[63:64]
	ds_read2_b64 v[78:81], v88 offset0:2 offset1:3
	s_waitcnt lgkmcnt(0)
	v_fma_f64 v[71:72], v[86:87], v[78:79], v[71:72]
	v_mul_f64 v[78:79], v[84:85], v[5:6]
	v_mul_f64 v[78:79], v[78:79], v[65:66]
	v_fma_f64 v[71:72], v[78:79], v[80:81], v[71:72]
	v_mul_f64 v[78:79], v[84:85], v[67:68]
	v_mul_f64 v[84:85], v[78:79], v[0:1]
	ds_read2_b64 v[78:81], v88 offset0:4 offset1:5
	s_waitcnt lgkmcnt(0)
	v_fma_f64 v[71:72], v[84:85], v[78:79], v[71:72]
	v_mul_f64 v[78:79], v[82:83], v[13:14]
	v_mul_f64 v[84:85], v[78:79], v[33:34]
	;; [unrolled: 1-line block ×4, first 2 shown]
	v_fma_f64 v[71:72], v[78:79], v[80:81], v[71:72]
	v_mul_f64 v[78:79], v[84:85], v[9:10]
	v_mul_f64 v[86:87], v[78:79], v[61:62]
	ds_read2_b64 v[78:81], v88 offset0:6 offset1:7
	s_waitcnt lgkmcnt(0)
	v_fma_f64 v[71:72], v[86:87], v[78:79], v[71:72]
	v_mul_f64 v[78:79], v[84:85], v[3:4]
	v_mul_f64 v[78:79], v[78:79], v[63:64]
	v_fma_f64 v[71:72], v[78:79], v[80:81], v[71:72]
	v_mul_f64 v[78:79], v[84:85], v[5:6]
	v_mul_f64 v[86:87], v[78:79], v[65:66]
	ds_read2_b64 v[78:81], v88 offset0:8 offset1:9
	s_waitcnt lgkmcnt(0)
	v_fma_f64 v[71:72], v[86:87], v[78:79], v[71:72]
	v_mul_f64 v[78:79], v[84:85], v[67:68]
	v_mul_f64 v[78:79], v[78:79], v[0:1]
	v_fma_f64 v[71:72], v[78:79], v[80:81], v[71:72]
	v_mul_f64 v[78:79], v[82:83], v[15:16]
	v_mul_f64 v[84:85], v[78:79], v[41:42]
	;; [unrolled: 1-line block ×4, first 2 shown]
	ds_read2_b64 v[78:81], v88 offset0:10 offset1:11
	s_waitcnt lgkmcnt(0)
	v_fma_f64 v[71:72], v[86:87], v[78:79], v[71:72]
	v_mul_f64 v[78:79], v[84:85], v[9:10]
	v_mul_f64 v[78:79], v[78:79], v[61:62]
	v_fma_f64 v[71:72], v[78:79], v[80:81], v[71:72]
	v_mul_f64 v[78:79], v[84:85], v[3:4]
	v_mul_f64 v[86:87], v[78:79], v[63:64]
	ds_read2_b64 v[78:81], v88 offset0:12 offset1:13
	s_waitcnt lgkmcnt(0)
	v_fma_f64 v[71:72], v[86:87], v[78:79], v[71:72]
	v_mul_f64 v[78:79], v[84:85], v[5:6]
	v_mul_f64 v[78:79], v[78:79], v[65:66]
	v_fma_f64 v[71:72], v[78:79], v[80:81], v[71:72]
	v_mul_f64 v[78:79], v[84:85], v[67:68]
	v_mul_f64 v[84:85], v[78:79], v[0:1]
	ds_read2_b64 v[78:81], v88 offset0:14 offset1:15
	s_waitcnt lgkmcnt(0)
	v_fma_f64 v[71:72], v[84:85], v[78:79], v[71:72]
	v_mul_f64 v[78:79], v[82:83], v[17:18]
	v_mul_f64 v[84:85], v[78:79], v[49:50]
	;; [unrolled: 1-line block ×4, first 2 shown]
	v_fma_f64 v[71:72], v[78:79], v[80:81], v[71:72]
	v_mul_f64 v[78:79], v[84:85], v[9:10]
	v_mul_f64 v[86:87], v[78:79], v[61:62]
	ds_read2_b64 v[78:81], v88 offset0:16 offset1:17
	s_waitcnt lgkmcnt(0)
	v_fma_f64 v[71:72], v[86:87], v[78:79], v[71:72]
	v_mul_f64 v[78:79], v[84:85], v[3:4]
	v_mul_f64 v[78:79], v[78:79], v[63:64]
	v_fma_f64 v[71:72], v[78:79], v[80:81], v[71:72]
	v_mul_f64 v[78:79], v[84:85], v[5:6]
	v_mul_f64 v[86:87], v[78:79], v[65:66]
	ds_read2_b64 v[78:81], v88 offset0:18 offset1:19
	s_waitcnt lgkmcnt(0)
	v_fma_f64 v[71:72], v[86:87], v[78:79], v[71:72]
	v_mul_f64 v[78:79], v[84:85], v[67:68]
	v_mul_f64 v[78:79], v[78:79], v[0:1]
	v_fma_f64 v[71:72], v[78:79], v[80:81], v[71:72]
	v_mul_f64 v[78:79], v[82:83], v[69:70]
	v_mul_f64 v[82:83], v[78:79], v[57:58]
	;; [unrolled: 1-line block ×4, first 2 shown]
	ds_read2_b64 v[78:81], v88 offset0:20 offset1:21
	s_waitcnt lgkmcnt(0)
	v_fma_f64 v[71:72], v[84:85], v[78:79], v[71:72]
	v_mul_f64 v[78:79], v[82:83], v[9:10]
	v_mul_f64 v[78:79], v[78:79], v[61:62]
	v_fma_f64 v[71:72], v[78:79], v[80:81], v[71:72]
	v_mul_f64 v[78:79], v[82:83], v[3:4]
	v_mul_f64 v[84:85], v[78:79], v[63:64]
	ds_read2_b64 v[78:81], v88 offset0:22 offset1:23
	s_waitcnt lgkmcnt(0)
	v_fma_f64 v[71:72], v[84:85], v[78:79], v[71:72]
	v_mul_f64 v[78:79], v[82:83], v[5:6]
	v_mul_f64 v[78:79], v[78:79], v[65:66]
	v_fma_f64 v[71:72], v[78:79], v[80:81], v[71:72]
	v_mul_f64 v[78:79], v[82:83], v[67:68]
	ds_read_b64 v[80:81], v88 offset:192
	v_mul_f64 v[78:79], v[78:79], v[0:1]
	s_waitcnt lgkmcnt(0)
	v_fma_f64 v[71:72], v[78:79], v[80:81], v[71:72]
	s_cbranch_scc1 .LBB0_30
; %bb.31:                               ;   in Loop: Header=BB0_29 Depth=2
	s_lshl_b64 s[8:9], s[6:7], 13
	s_add_u32 s6, s6, 1
	v_add_co_u32 v0, vcc_lo, v73, s8
	v_add_co_ci_u32_e64 v1, null, s9, v74, vcc_lo
	s_addc_u32 s7, s7, 0
	v_add_co_u32 v0, vcc_lo, v0, s0
	v_add_co_ci_u32_e64 v1, null, s1, v1, vcc_lo
	s_cmp_lg_u64 s[6:7], 4
	v_add_co_u32 v0, vcc_lo, v0, s4
	v_add_co_ci_u32_e64 v1, null, s5, v1, vcc_lo
	v_add_co_u32 v0, vcc_lo, v0, v2
	v_add_co_ci_u32_e64 v1, null, 0, v1, vcc_lo
	;; [unrolled: 2-line block ×3, first 2 shown]
	global_store_dwordx2 v[0:1], v[71:72], off
	s_cbranch_scc1 .LBB0_29
; %bb.32:                               ;   in Loop: Header=BB0_16 Depth=1
	s_add_u32 s2, s2, 1
	s_addc_u32 s3, s3, 0
	s_add_i32 s10, s10, 8
	s_cmp_eq_u64 s[2:3], 4
	s_cbranch_scc0 .LBB0_16
.LBB0_33:
	s_endpgm
	.section	.rodata,"a",@progbits
	.p2align	6, 0x0
	.amdhsa_kernel _ZN8rajaperf4apps8Mass3DEAILm64EEEvPdS2_S2_
		.amdhsa_group_segment_fixed_size 1168
		.amdhsa_private_segment_fixed_size 0
		.amdhsa_kernarg_size 24
		.amdhsa_user_sgpr_count 6
		.amdhsa_user_sgpr_private_segment_buffer 1
		.amdhsa_user_sgpr_dispatch_ptr 0
		.amdhsa_user_sgpr_queue_ptr 0
		.amdhsa_user_sgpr_kernarg_segment_ptr 1
		.amdhsa_user_sgpr_dispatch_id 0
		.amdhsa_user_sgpr_flat_scratch_init 0
		.amdhsa_user_sgpr_private_segment_size 0
		.amdhsa_wavefront_size32 1
		.amdhsa_uses_dynamic_stack 0
		.amdhsa_system_sgpr_private_segment_wavefront_offset 0
		.amdhsa_system_sgpr_workgroup_id_x 1
		.amdhsa_system_sgpr_workgroup_id_y 0
		.amdhsa_system_sgpr_workgroup_id_z 0
		.amdhsa_system_sgpr_workgroup_info 0
		.amdhsa_system_vgpr_workitem_id 2
		.amdhsa_next_free_vgpr 92
		.amdhsa_next_free_sgpr 14
		.amdhsa_reserve_vcc 1
		.amdhsa_reserve_flat_scratch 0
		.amdhsa_float_round_mode_32 0
		.amdhsa_float_round_mode_16_64 0
		.amdhsa_float_denorm_mode_32 3
		.amdhsa_float_denorm_mode_16_64 3
		.amdhsa_dx10_clamp 1
		.amdhsa_ieee_mode 1
		.amdhsa_fp16_overflow 0
		.amdhsa_workgroup_processor_mode 1
		.amdhsa_memory_ordered 1
		.amdhsa_forward_progress 1
		.amdhsa_shared_vgpr_count 0
		.amdhsa_exception_fp_ieee_invalid_op 0
		.amdhsa_exception_fp_denorm_src 0
		.amdhsa_exception_fp_ieee_div_zero 0
		.amdhsa_exception_fp_ieee_overflow 0
		.amdhsa_exception_fp_ieee_underflow 0
		.amdhsa_exception_fp_ieee_inexact 0
		.amdhsa_exception_int_div_zero 0
	.end_amdhsa_kernel
	.section	.text._ZN8rajaperf4apps8Mass3DEAILm64EEEvPdS2_S2_,"axG",@progbits,_ZN8rajaperf4apps8Mass3DEAILm64EEEvPdS2_S2_,comdat
.Lfunc_end0:
	.size	_ZN8rajaperf4apps8Mass3DEAILm64EEEvPdS2_S2_, .Lfunc_end0-_ZN8rajaperf4apps8Mass3DEAILm64EEEvPdS2_S2_
                                        ; -- End function
	.set _ZN8rajaperf4apps8Mass3DEAILm64EEEvPdS2_S2_.num_vgpr, 92
	.set _ZN8rajaperf4apps8Mass3DEAILm64EEEvPdS2_S2_.num_agpr, 0
	.set _ZN8rajaperf4apps8Mass3DEAILm64EEEvPdS2_S2_.numbered_sgpr, 14
	.set _ZN8rajaperf4apps8Mass3DEAILm64EEEvPdS2_S2_.num_named_barrier, 0
	.set _ZN8rajaperf4apps8Mass3DEAILm64EEEvPdS2_S2_.private_seg_size, 0
	.set _ZN8rajaperf4apps8Mass3DEAILm64EEEvPdS2_S2_.uses_vcc, 1
	.set _ZN8rajaperf4apps8Mass3DEAILm64EEEvPdS2_S2_.uses_flat_scratch, 0
	.set _ZN8rajaperf4apps8Mass3DEAILm64EEEvPdS2_S2_.has_dyn_sized_stack, 0
	.set _ZN8rajaperf4apps8Mass3DEAILm64EEEvPdS2_S2_.has_recursion, 0
	.set _ZN8rajaperf4apps8Mass3DEAILm64EEEvPdS2_S2_.has_indirect_call, 0
	.section	.AMDGPU.csdata,"",@progbits
; Kernel info:
; codeLenInByte = 5148
; TotalNumSgprs: 16
; NumVgprs: 92
; ScratchSize: 0
; MemoryBound: 0
; FloatMode: 240
; IeeeMode: 1
; LDSByteSize: 1168 bytes/workgroup (compile time only)
; SGPRBlocks: 0
; VGPRBlocks: 11
; NumSGPRsForWavesPerEU: 16
; NumVGPRsForWavesPerEU: 92
; Occupancy: 10
; WaveLimiterHint : 0
; COMPUTE_PGM_RSRC2:SCRATCH_EN: 0
; COMPUTE_PGM_RSRC2:USER_SGPR: 6
; COMPUTE_PGM_RSRC2:TRAP_HANDLER: 0
; COMPUTE_PGM_RSRC2:TGID_X_EN: 1
; COMPUTE_PGM_RSRC2:TGID_Y_EN: 0
; COMPUTE_PGM_RSRC2:TGID_Z_EN: 0
; COMPUTE_PGM_RSRC2:TIDIG_COMP_CNT: 2
	.section	.text._ZN4RAJA34launch_new_reduce_global_fcn_fixedIZN8rajaperf4apps8MASS3DEA17runHipVariantImplILm64ELm0EEEvNS1_9VariantIDEEUlNS_14LaunchContextTINS_3hip33LaunchContextIndicesAndDimsPolicyINS7_14IndicesAndDimsILb0ELb0ELb0ELb0EEEEEEEE_Li64ENS_4expt15ForallParamPackIJEEEEEvT_T1_,"axG",@progbits,_ZN4RAJA34launch_new_reduce_global_fcn_fixedIZN8rajaperf4apps8MASS3DEA17runHipVariantImplILm64ELm0EEEvNS1_9VariantIDEEUlNS_14LaunchContextTINS_3hip33LaunchContextIndicesAndDimsPolicyINS7_14IndicesAndDimsILb0ELb0ELb0ELb0EEEEEEEE_Li64ENS_4expt15ForallParamPackIJEEEEEvT_T1_,comdat
	.protected	_ZN4RAJA34launch_new_reduce_global_fcn_fixedIZN8rajaperf4apps8MASS3DEA17runHipVariantImplILm64ELm0EEEvNS1_9VariantIDEEUlNS_14LaunchContextTINS_3hip33LaunchContextIndicesAndDimsPolicyINS7_14IndicesAndDimsILb0ELb0ELb0ELb0EEEEEEEE_Li64ENS_4expt15ForallParamPackIJEEEEEvT_T1_ ; -- Begin function _ZN4RAJA34launch_new_reduce_global_fcn_fixedIZN8rajaperf4apps8MASS3DEA17runHipVariantImplILm64ELm0EEEvNS1_9VariantIDEEUlNS_14LaunchContextTINS_3hip33LaunchContextIndicesAndDimsPolicyINS7_14IndicesAndDimsILb0ELb0ELb0ELb0EEEEEEEE_Li64ENS_4expt15ForallParamPackIJEEEEEvT_T1_
	.globl	_ZN4RAJA34launch_new_reduce_global_fcn_fixedIZN8rajaperf4apps8MASS3DEA17runHipVariantImplILm64ELm0EEEvNS1_9VariantIDEEUlNS_14LaunchContextTINS_3hip33LaunchContextIndicesAndDimsPolicyINS7_14IndicesAndDimsILb0ELb0ELb0ELb0EEEEEEEE_Li64ENS_4expt15ForallParamPackIJEEEEEvT_T1_
	.p2align	8
	.type	_ZN4RAJA34launch_new_reduce_global_fcn_fixedIZN8rajaperf4apps8MASS3DEA17runHipVariantImplILm64ELm0EEEvNS1_9VariantIDEEUlNS_14LaunchContextTINS_3hip33LaunchContextIndicesAndDimsPolicyINS7_14IndicesAndDimsILb0ELb0ELb0ELb0EEEEEEEE_Li64ENS_4expt15ForallParamPackIJEEEEEvT_T1_,@function
_ZN4RAJA34launch_new_reduce_global_fcn_fixedIZN8rajaperf4apps8MASS3DEA17runHipVariantImplILm64ELm0EEEvNS1_9VariantIDEEUlNS_14LaunchContextTINS_3hip33LaunchContextIndicesAndDimsPolicyINS7_14IndicesAndDimsILb0ELb0ELb0ELb0EEEEEEEE_Li64ENS_4expt15ForallParamPackIJEEEEEvT_T1_: ; @_ZN4RAJA34launch_new_reduce_global_fcn_fixedIZN8rajaperf4apps8MASS3DEA17runHipVariantImplILm64ELm0EEEvNS1_9VariantIDEEUlNS_14LaunchContextTINS_3hip33LaunchContextIndicesAndDimsPolicyINS7_14IndicesAndDimsILb0ELb0ELb0ELb0EEEEEEEE_Li64ENS_4expt15ForallParamPackIJEEEEEvT_T1_
; %bb.0:
	s_load_dwordx8 s[8:15], s[4:5], 0x0
	s_mov_b32 s7, 0
	s_waitcnt lgkmcnt(0)
	v_cmp_le_i64_e64 s0, s[8:9], s[6:7]
	s_and_b32 vcc_lo, exec_lo, s0
	s_cbranch_vccnz .LBB1_57
; %bb.1:
	v_cmp_eq_u32_e32 vcc_lo, 0, v2
	s_and_saveexec_b32 s2, vcc_lo
	s_cbranch_execz .LBB1_5
; %bb.2:
	v_cmp_gt_u32_e64 s0, 4, v0
	v_cmp_gt_u32_e64 s1, 5, v1
	s_and_b32 s0, s0, s1
	s_and_b32 exec_lo, exec_lo, s0
	s_cbranch_execz .LBB1_5
; %bb.3:
	v_mov_b32_e32 v3, v2
	v_mov_b32_e32 v2, 0
	v_mul_u32_u24_e32 v4, 40, v0
	v_lshlrev_b64 v[5:6], 3, v[1:2]
	v_mov_b32_e32 v2, v3
	v_add_co_u32 v3, s0, s10, v4
	v_add_co_ci_u32_e64 v4, null, s11, 0, s0
	v_add_co_u32 v5, s0, v3, v5
	v_add_co_ci_u32_e64 v6, null, v4, v6, s0
	v_cmp_eq_u32_e64 s0, 0, v1
	global_load_dwordx2 v[6:7], v[5:6], off
	v_lshl_add_u32 v5, v0, 3, 0x3f0
	v_lshl_add_u32 v8, v1, 5, v5
	s_waitcnt vmcnt(0)
	ds_write_b64 v8, v[6:7]
	s_and_b32 exec_lo, exec_lo, s0
	s_cbranch_execz .LBB1_5
; %bb.4:
	global_load_dwordx2 v[3:4], v[3:4], off offset:32
	s_waitcnt vmcnt(0)
	ds_write_b64 v5, v[3:4] offset:128
.LBB1_5:
	s_or_b32 exec_lo, exec_lo, s2
	s_mov_b32 s4, exec_lo
	v_cmpx_gt_u32_e32 5, v0
	s_cbranch_execz .LBB1_20
; %bb.6:
	v_cmp_gt_u32_e64 s0, 5, v2
	v_cmp_eq_u32_e64 s2, 0, v1
	v_cmp_lt_u32_e64 s1, 4, v1
	v_mul_u32_u24_e32 v5, 0xc8, v2
	v_mul_u32_u24_e32 v6, 40, v1
	s_mul_hi_u32 s5, s6, 0x3e8
	s_and_b32 s9, s2, s0
	s_mul_i32 s8, s6, 0x3e8
	s_mov_b32 s10, exec_lo
	v_cmpx_gt_u32_e32 5, v1
	s_cbranch_execz .LBB1_13
; %bb.7:
	v_mul_u32_u24_e32 v7, 0xc8, v0
	s_and_saveexec_b32 s3, s0
	s_cbranch_execz .LBB1_10
; %bb.8:
	v_lshlrev_b32_e32 v3, 3, v0
	v_add_co_u32 v3, s2, s12, v3
	v_add_co_ci_u32_e64 v4, null, s13, 0, s2
	v_add_co_u32 v3, s2, v3, v6
	v_add_co_ci_u32_e64 v4, null, 0, v4, s2
	;; [unrolled: 2-line block ×4, first 2 shown]
	global_load_dwordx2 v[9:10], v[8:9], off
	v_mad_u32_u24 v8, v1, 40, v7
	v_lshl_add_u32 v11, v2, 3, v8
	s_waitcnt vmcnt(0)
	ds_write_b64 v11, v[9:10]
	s_and_b32 exec_lo, exec_lo, vcc_lo
	s_cbranch_execz .LBB1_10
; %bb.9:
	global_load_dwordx2 v[3:4], v[3:4], off offset:800
	s_waitcnt vmcnt(0)
	ds_write_b64 v8, v[3:4] offset:32
.LBB1_10:
	s_or_b32 exec_lo, exec_lo, s3
	s_and_b32 exec_lo, exec_lo, s9
	s_cbranch_execz .LBB1_13
; %bb.11:
	v_lshlrev_b32_e32 v3, 3, v0
	v_lshl_add_u32 v10, v2, 3, v7
	v_add_co_u32 v3, s2, s12, v3
	v_add_co_ci_u32_e64 v4, null, s13, 0, s2
	v_add_co_u32 v3, s2, v3, s8
	v_add_co_ci_u32_e64 v4, null, s5, v4, s2
	;; [unrolled: 2-line block ×3, first 2 shown]
	global_load_dwordx2 v[8:9], v[8:9], off offset:160
	s_waitcnt vmcnt(0)
	ds_write_b64 v10, v[8:9] offset:160
	s_and_b32 exec_lo, exec_lo, vcc_lo
	s_cbranch_execz .LBB1_13
; %bb.12:
	global_load_dwordx2 v[3:4], v[3:4], off offset:960
	s_waitcnt vmcnt(0)
	ds_write_b64 v7, v[3:4] offset:192
.LBB1_13:
	s_or_b32 exec_lo, exec_lo, s10
	v_cmp_eq_u32_e64 s2, 0, v0
	s_xor_b32 s1, s1, -1
	s_and_b32 s1, s2, s1
	s_and_b32 exec_lo, exec_lo, s1
	s_cbranch_execz .LBB1_20
; %bb.14:
	s_and_saveexec_b32 s1, s0
	s_cbranch_execz .LBB1_17
; %bb.15:
	v_add_co_u32 v3, s0, s12, v6
	v_add_co_ci_u32_e64 v4, null, s13, 0, s0
	v_lshlrev_b32_e32 v9, 3, v2
	v_add_co_u32 v3, s0, v3, s8
	v_add_co_ci_u32_e64 v4, null, s5, v4, s0
	v_mad_u32_u24 v9, v1, 40, v9
	v_add_co_u32 v7, s0, v3, v5
	v_add_co_ci_u32_e64 v8, null, 0, v4, s0
	global_load_dwordx2 v[7:8], v[7:8], off offset:32
	s_waitcnt vmcnt(0)
	ds_write_b64 v9, v[7:8] offset:800
	s_and_b32 exec_lo, exec_lo, vcc_lo
	s_cbranch_execz .LBB1_17
; %bb.16:
	global_load_dwordx2 v[3:4], v[3:4], off offset:832
	s_waitcnt vmcnt(0)
	ds_write_b64 v6, v[3:4] offset:832
.LBB1_17:
	s_or_b32 exec_lo, exec_lo, s1
	s_and_b32 exec_lo, exec_lo, s9
	s_cbranch_execz .LBB1_20
; %bb.18:
	s_add_u32 s0, s12, s8
	s_addc_u32 s1, s13, s5
	v_add_co_u32 v3, s2, s0, v5
	v_add_co_ci_u32_e64 v4, null, s1, 0, s2
	v_lshlrev_b32_e32 v5, 3, v2
	global_load_dwordx2 v[3:4], v[3:4], off offset:192
	s_waitcnt vmcnt(0)
	ds_write_b64 v5, v[3:4] offset:960
	s_and_b32 exec_lo, exec_lo, vcc_lo
	s_cbranch_execz .LBB1_20
; %bb.19:
	s_load_dwordx2 s[0:1], s[0:1], 0x3e0
	v_mov_b32_e32 v5, 0
	s_waitcnt lgkmcnt(0)
	v_mov_b32_e32 v4, s1
	v_mov_b32_e32 v3, s0
	ds_write_b64 v5, v[3:4] offset:992
.LBB1_20:
	s_or_b32 exec_lo, exec_lo, s4
	s_waitcnt lgkmcnt(0)
	s_barrier
	buffer_gl0_inv
	s_mov_b32 s0, exec_lo
	v_cmpx_gt_u32_e32 4, v0
	s_cbranch_execz .LBB1_57
; %bb.21:
	v_cmp_gt_u32_e32 vcc_lo, 4, v1
	s_and_b32 exec_lo, exec_lo, vcc_lo
	s_cbranch_execz .LBB1_57
; %bb.22:
	v_cmp_gt_u32_e32 vcc_lo, 4, v2
	s_and_b32 exec_lo, exec_lo, vcc_lo
	s_cbranch_execz .LBB1_57
; %bb.23:
	v_lshlrev_b32_e32 v3, 3, v0
	v_lshlrev_b32_e32 v33, 3, v2
	v_mov_b32_e32 v53, 0
	v_lshlrev_b32_e32 v34, 3, v1
	v_lshlrev_b32_e32 v61, 7, v2
	v_lshlrev_b32_e32 v62, 5, v1
	v_add_co_u32 v63, s0, s14, v3
	ds_read2_b64 v[1:4], v33 offset0:126 offset1:130
	ds_read_b128 v[5:8], v53 offset:1008
	ds_read_b128 v[9:12], v53 offset:1024
	;; [unrolled: 1-line block ×4, first 2 shown]
	ds_read2_b64 v[21:24], v33 offset0:134 offset1:138
	ds_read2_b64 v[25:28], v34 offset0:126 offset1:130
	;; [unrolled: 1-line block ×3, first 2 shown]
	ds_read_b64 v[57:58], v33 offset:1136
	ds_read_b64 v[59:60], v34 offset:1136
	ds_read_b128 v[33:36], v53 offset:1072
	ds_read_b128 v[37:40], v53 offset:1088
	;; [unrolled: 1-line block ×6, first 2 shown]
	v_add_co_ci_u32_e64 v64, null, s15, 0, s0
	v_add_co_u32 v62, vcc_lo, v63, v62
	s_lshl_b64 s[0:1], s[6:7], 15
	v_add_co_ci_u32_e64 v63, null, 0, v64, vcc_lo
	v_add_co_u32 v62, vcc_lo, v62, s0
	v_lshl_add_u32 v0, v0, 3, 0x3f0
	v_add_co_ci_u32_e64 v63, null, s1, v63, vcc_lo
	v_add_co_u32 v67, vcc_lo, v62, v61
	s_movk_i32 s4, 0x3f0
	v_add_co_ci_u32_e64 v68, null, 0, v63, vcc_lo
	s_mov_b64 s[0:1], 0
.LBB1_24:                               ; =>This Loop Header: Depth=1
                                        ;     Child Loop BB1_25 Depth 2
                                        ;     Child Loop BB1_27 Depth 2
	;; [unrolled: 1-line block ×16, first 2 shown]
	v_mov_b32_e32 v63, 0
	v_mov_b32_e32 v64, 0
	;; [unrolled: 1-line block ×3, first 2 shown]
	s_mov_b64 s[2:3], 5
	s_mov_b32 s5, s4
	s_mov_b32 s6, 0
.LBB1_25:                               ;   Parent Loop BB1_24 Depth=1
                                        ; =>  This Inner Loop Header: Depth=2
	v_mov_b32_e32 v62, s5
	ds_read_b64 v[65:66], v61
	v_mov_b32_e32 v77, s6
	s_add_u32 s2, s2, -1
	v_add_nc_u32_e32 v61, 32, v61
	ds_read_b64 v[69:70], v62
	s_addc_u32 s3, s3, -1
	s_addk_i32 s6, 0xc8
	s_add_i32 s5, s5, 32
	s_cmp_lg_u64 s[2:3], 0
	s_waitcnt lgkmcnt(0)
	v_mul_f64 v[73:74], v[65:66], v[69:70]
	ds_read2_b64 v[69:72], v77 offset1:1
	v_mul_f64 v[65:66], v[25:26], v[73:74]
	v_mul_f64 v[75:76], v[5:6], v[65:66]
	;; [unrolled: 1-line block ×4, first 2 shown]
	s_waitcnt lgkmcnt(0)
	v_fma_f64 v[62:63], v[69:70], v[65:66], v[63:64]
	v_mul_f64 v[64:65], v[3:4], v[75:76]
	v_mul_f64 v[64:65], v[13:14], v[64:65]
	v_fma_f64 v[69:70], v[71:72], v[64:65], v[62:63]
	v_mul_f64 v[62:63], v[21:22], v[75:76]
	v_mul_f64 v[71:72], v[33:34], v[62:63]
	ds_read2_b64 v[62:65], v77 offset0:2 offset1:3
	s_waitcnt lgkmcnt(0)
	v_fma_f64 v[62:63], v[62:63], v[71:72], v[69:70]
	v_mul_f64 v[69:70], v[23:24], v[75:76]
	v_mul_f64 v[69:70], v[41:42], v[69:70]
	v_fma_f64 v[69:70], v[64:65], v[69:70], v[62:63]
	v_mul_f64 v[62:63], v[57:58], v[75:76]
	v_mul_f64 v[71:72], v[49:50], v[62:63]
	ds_read2_b64 v[62:65], v77 offset0:4 offset1:5
	s_waitcnt lgkmcnt(0)
	v_fma_f64 v[62:63], v[71:72], v[62:63], v[69:70]
	v_mul_f64 v[69:70], v[27:28], v[73:74]
	v_mul_f64 v[69:70], v[13:14], v[69:70]
	;; [unrolled: 1-line block ×4, first 2 shown]
	v_fma_f64 v[71:72], v[71:72], v[64:65], v[62:63]
	v_mul_f64 v[62:63], v[3:4], v[69:70]
	v_mul_f64 v[75:76], v[13:14], v[62:63]
	ds_read2_b64 v[62:65], v77 offset0:6 offset1:7
	s_waitcnt lgkmcnt(0)
	v_fma_f64 v[62:63], v[75:76], v[62:63], v[71:72]
	v_mul_f64 v[71:72], v[21:22], v[69:70]
	v_mul_f64 v[71:72], v[33:34], v[71:72]
	v_fma_f64 v[71:72], v[71:72], v[64:65], v[62:63]
	v_mul_f64 v[62:63], v[23:24], v[69:70]
	v_mul_f64 v[69:70], v[57:58], v[69:70]
	;; [unrolled: 1-line block ×3, first 2 shown]
	ds_read2_b64 v[62:65], v77 offset0:8 offset1:9
	v_mul_f64 v[69:70], v[49:50], v[69:70]
	s_waitcnt lgkmcnt(0)
	v_fma_f64 v[62:63], v[75:76], v[62:63], v[71:72]
	v_fma_f64 v[69:70], v[69:70], v[64:65], v[62:63]
	v_mul_f64 v[62:63], v[29:30], v[73:74]
	v_mul_f64 v[71:72], v[33:34], v[62:63]
	;; [unrolled: 1-line block ×4, first 2 shown]
	ds_read2_b64 v[62:65], v77 offset0:10 offset1:11
	s_waitcnt lgkmcnt(0)
	v_fma_f64 v[62:63], v[75:76], v[62:63], v[69:70]
	v_mul_f64 v[69:70], v[3:4], v[71:72]
	v_mul_f64 v[69:70], v[13:14], v[69:70]
	v_fma_f64 v[69:70], v[69:70], v[64:65], v[62:63]
	v_mul_f64 v[62:63], v[21:22], v[71:72]
	v_mul_f64 v[75:76], v[33:34], v[62:63]
	ds_read2_b64 v[62:65], v77 offset0:12 offset1:13
	s_waitcnt lgkmcnt(0)
	v_fma_f64 v[62:63], v[75:76], v[62:63], v[69:70]
	v_mul_f64 v[69:70], v[23:24], v[71:72]
	v_mul_f64 v[69:70], v[41:42], v[69:70]
	v_fma_f64 v[69:70], v[69:70], v[64:65], v[62:63]
	v_mul_f64 v[62:63], v[57:58], v[71:72]
	v_mul_f64 v[71:72], v[49:50], v[62:63]
	ds_read2_b64 v[62:65], v77 offset0:14 offset1:15
	s_waitcnt lgkmcnt(0)
	v_fma_f64 v[62:63], v[71:72], v[62:63], v[69:70]
	v_mul_f64 v[69:70], v[31:32], v[73:74]
	v_mul_f64 v[69:70], v[41:42], v[69:70]
	;; [unrolled: 1-line block ×4, first 2 shown]
	v_fma_f64 v[71:72], v[71:72], v[64:65], v[62:63]
	v_mul_f64 v[62:63], v[3:4], v[69:70]
	v_mul_f64 v[75:76], v[13:14], v[62:63]
	ds_read2_b64 v[62:65], v77 offset0:16 offset1:17
	s_waitcnt lgkmcnt(0)
	v_fma_f64 v[62:63], v[75:76], v[62:63], v[71:72]
	v_mul_f64 v[71:72], v[21:22], v[69:70]
	v_mul_f64 v[71:72], v[33:34], v[71:72]
	v_fma_f64 v[71:72], v[71:72], v[64:65], v[62:63]
	v_mul_f64 v[62:63], v[23:24], v[69:70]
	v_mul_f64 v[69:70], v[57:58], v[69:70]
	v_mul_f64 v[75:76], v[41:42], v[62:63]
	ds_read2_b64 v[62:65], v77 offset0:18 offset1:19
	v_mul_f64 v[69:70], v[49:50], v[69:70]
	s_waitcnt lgkmcnt(0)
	v_fma_f64 v[62:63], v[75:76], v[62:63], v[71:72]
	v_fma_f64 v[69:70], v[69:70], v[64:65], v[62:63]
	v_mul_f64 v[62:63], v[59:60], v[73:74]
	v_mul_f64 v[71:72], v[49:50], v[62:63]
	;; [unrolled: 1-line block ×4, first 2 shown]
	ds_read2_b64 v[62:65], v77 offset0:20 offset1:21
	s_waitcnt lgkmcnt(0)
	v_fma_f64 v[62:63], v[73:74], v[62:63], v[69:70]
	v_mul_f64 v[69:70], v[3:4], v[71:72]
	v_mul_f64 v[69:70], v[13:14], v[69:70]
	v_fma_f64 v[69:70], v[69:70], v[64:65], v[62:63]
	v_mul_f64 v[62:63], v[21:22], v[71:72]
	v_mul_f64 v[73:74], v[33:34], v[62:63]
	ds_read2_b64 v[62:65], v77 offset0:22 offset1:23
	s_waitcnt lgkmcnt(0)
	v_fma_f64 v[62:63], v[73:74], v[62:63], v[69:70]
	v_mul_f64 v[69:70], v[23:24], v[71:72]
	v_mul_f64 v[69:70], v[41:42], v[69:70]
	v_fma_f64 v[62:63], v[69:70], v[64:65], v[62:63]
	v_mul_f64 v[64:65], v[57:58], v[71:72]
	ds_read_b64 v[69:70], v77 offset:192
	v_mul_f64 v[64:65], v[49:50], v[64:65]
	s_waitcnt lgkmcnt(0)
	v_fma_f64 v[63:64], v[64:65], v[69:70], v[62:63]
	s_cbranch_scc1 .LBB1_25
; %bb.26:                               ;   in Loop: Header=BB1_24 Depth=1
	s_lshl_b64 s[2:3], s[0:1], 9
	v_mov_b32_e32 v65, 0
	v_add_co_u32 v61, vcc_lo, v67, s2
	v_add_co_ci_u32_e64 v62, null, s3, v68, vcc_lo
	v_mov_b32_e32 v66, 0
	s_mov_b64 s[2:3], 5
	s_mov_b32 s5, 0
	s_mov_b32 s6, 0
	global_store_dwordx2 v[61:62], v[63:64], off
.LBB1_27:                               ;   Parent Loop BB1_24 Depth=1
                                        ; =>  This Inner Loop Header: Depth=2
	s_add_i32 s7, s4, s5
	v_add_nc_u32_e32 v63, s5, v0
	v_mov_b32_e32 v69, s7
	v_mov_b32_e32 v77, s6
	s_add_u32 s2, s2, -1
	s_addc_u32 s3, s3, -1
	ds_read_b64 v[63:64], v63
	ds_read_b64 v[69:70], v69
	s_addk_i32 s6, 0xc8
	s_add_i32 s5, s5, 32
	s_cmp_lg_u64 s[2:3], 0
	s_waitcnt lgkmcnt(0)
	v_mul_f64 v[73:74], v[63:64], v[69:70]
	ds_read2_b64 v[69:72], v77 offset1:1
	v_mul_f64 v[63:64], v[25:26], v[73:74]
	v_mul_f64 v[75:76], v[5:6], v[63:64]
	;; [unrolled: 1-line block ×4, first 2 shown]
	s_waitcnt lgkmcnt(0)
	v_fma_f64 v[63:64], v[69:70], v[63:64], v[65:66]
	v_mul_f64 v[65:66], v[3:4], v[75:76]
	v_mul_f64 v[65:66], v[15:16], v[65:66]
	v_fma_f64 v[69:70], v[71:72], v[65:66], v[63:64]
	v_mul_f64 v[63:64], v[21:22], v[75:76]
	v_mul_f64 v[71:72], v[35:36], v[63:64]
	ds_read2_b64 v[63:66], v77 offset0:2 offset1:3
	s_waitcnt lgkmcnt(0)
	v_fma_f64 v[63:64], v[63:64], v[71:72], v[69:70]
	v_mul_f64 v[69:70], v[23:24], v[75:76]
	v_mul_f64 v[69:70], v[43:44], v[69:70]
	v_fma_f64 v[69:70], v[65:66], v[69:70], v[63:64]
	v_mul_f64 v[63:64], v[57:58], v[75:76]
	v_mul_f64 v[71:72], v[51:52], v[63:64]
	ds_read2_b64 v[63:66], v77 offset0:4 offset1:5
	s_waitcnt lgkmcnt(0)
	v_fma_f64 v[63:64], v[71:72], v[63:64], v[69:70]
	v_mul_f64 v[69:70], v[27:28], v[73:74]
	v_mul_f64 v[69:70], v[13:14], v[69:70]
	v_mul_f64 v[71:72], v[1:2], v[69:70]
	v_mul_f64 v[71:72], v[7:8], v[71:72]
	v_fma_f64 v[71:72], v[71:72], v[65:66], v[63:64]
	v_mul_f64 v[63:64], v[3:4], v[69:70]
	v_mul_f64 v[75:76], v[15:16], v[63:64]
	ds_read2_b64 v[63:66], v77 offset0:6 offset1:7
	s_waitcnt lgkmcnt(0)
	v_fma_f64 v[63:64], v[75:76], v[63:64], v[71:72]
	v_mul_f64 v[71:72], v[21:22], v[69:70]
	v_mul_f64 v[71:72], v[35:36], v[71:72]
	v_fma_f64 v[71:72], v[71:72], v[65:66], v[63:64]
	v_mul_f64 v[63:64], v[23:24], v[69:70]
	v_mul_f64 v[69:70], v[57:58], v[69:70]
	;; [unrolled: 1-line block ×3, first 2 shown]
	ds_read2_b64 v[63:66], v77 offset0:8 offset1:9
	v_mul_f64 v[69:70], v[51:52], v[69:70]
	s_waitcnt lgkmcnt(0)
	v_fma_f64 v[63:64], v[75:76], v[63:64], v[71:72]
	v_fma_f64 v[69:70], v[69:70], v[65:66], v[63:64]
	v_mul_f64 v[63:64], v[29:30], v[73:74]
	v_mul_f64 v[71:72], v[33:34], v[63:64]
	;; [unrolled: 1-line block ×4, first 2 shown]
	ds_read2_b64 v[63:66], v77 offset0:10 offset1:11
	s_waitcnt lgkmcnt(0)
	v_fma_f64 v[63:64], v[75:76], v[63:64], v[69:70]
	v_mul_f64 v[69:70], v[3:4], v[71:72]
	v_mul_f64 v[69:70], v[15:16], v[69:70]
	v_fma_f64 v[69:70], v[69:70], v[65:66], v[63:64]
	v_mul_f64 v[63:64], v[21:22], v[71:72]
	v_mul_f64 v[75:76], v[35:36], v[63:64]
	ds_read2_b64 v[63:66], v77 offset0:12 offset1:13
	s_waitcnt lgkmcnt(0)
	v_fma_f64 v[63:64], v[75:76], v[63:64], v[69:70]
	v_mul_f64 v[69:70], v[23:24], v[71:72]
	v_mul_f64 v[69:70], v[43:44], v[69:70]
	v_fma_f64 v[69:70], v[69:70], v[65:66], v[63:64]
	v_mul_f64 v[63:64], v[57:58], v[71:72]
	v_mul_f64 v[71:72], v[51:52], v[63:64]
	ds_read2_b64 v[63:66], v77 offset0:14 offset1:15
	s_waitcnt lgkmcnt(0)
	v_fma_f64 v[63:64], v[71:72], v[63:64], v[69:70]
	v_mul_f64 v[69:70], v[31:32], v[73:74]
	v_mul_f64 v[69:70], v[41:42], v[69:70]
	;; [unrolled: 1-line block ×4, first 2 shown]
	v_fma_f64 v[71:72], v[71:72], v[65:66], v[63:64]
	v_mul_f64 v[63:64], v[3:4], v[69:70]
	v_mul_f64 v[75:76], v[15:16], v[63:64]
	ds_read2_b64 v[63:66], v77 offset0:16 offset1:17
	s_waitcnt lgkmcnt(0)
	v_fma_f64 v[63:64], v[75:76], v[63:64], v[71:72]
	v_mul_f64 v[71:72], v[21:22], v[69:70]
	v_mul_f64 v[71:72], v[35:36], v[71:72]
	v_fma_f64 v[71:72], v[71:72], v[65:66], v[63:64]
	v_mul_f64 v[63:64], v[23:24], v[69:70]
	v_mul_f64 v[69:70], v[57:58], v[69:70]
	;; [unrolled: 1-line block ×3, first 2 shown]
	ds_read2_b64 v[63:66], v77 offset0:18 offset1:19
	v_mul_f64 v[69:70], v[51:52], v[69:70]
	s_waitcnt lgkmcnt(0)
	v_fma_f64 v[63:64], v[75:76], v[63:64], v[71:72]
	v_fma_f64 v[69:70], v[69:70], v[65:66], v[63:64]
	v_mul_f64 v[63:64], v[59:60], v[73:74]
	v_mul_f64 v[71:72], v[49:50], v[63:64]
	;; [unrolled: 1-line block ×4, first 2 shown]
	ds_read2_b64 v[63:66], v77 offset0:20 offset1:21
	s_waitcnt lgkmcnt(0)
	v_fma_f64 v[63:64], v[73:74], v[63:64], v[69:70]
	v_mul_f64 v[69:70], v[3:4], v[71:72]
	v_mul_f64 v[69:70], v[15:16], v[69:70]
	v_fma_f64 v[69:70], v[69:70], v[65:66], v[63:64]
	v_mul_f64 v[63:64], v[21:22], v[71:72]
	v_mul_f64 v[73:74], v[35:36], v[63:64]
	ds_read2_b64 v[63:66], v77 offset0:22 offset1:23
	s_waitcnt lgkmcnt(0)
	v_fma_f64 v[63:64], v[73:74], v[63:64], v[69:70]
	v_mul_f64 v[69:70], v[23:24], v[71:72]
	v_mul_f64 v[69:70], v[43:44], v[69:70]
	v_fma_f64 v[63:64], v[69:70], v[65:66], v[63:64]
	v_mul_f64 v[65:66], v[57:58], v[71:72]
	ds_read_b64 v[69:70], v77 offset:192
	v_mul_f64 v[65:66], v[51:52], v[65:66]
	s_waitcnt lgkmcnt(0)
	v_fma_f64 v[65:66], v[65:66], v[69:70], v[63:64]
	s_cbranch_scc1 .LBB1_27
; %bb.28:                               ;   in Loop: Header=BB1_24 Depth=1
	v_add_co_u32 v69, vcc_lo, 0x2000, v61
	v_mov_b32_e32 v63, 0
	v_add_co_ci_u32_e64 v70, null, 0, v62, vcc_lo
	v_mov_b32_e32 v64, 0
	s_mov_b32 s5, 0
	s_mov_b64 s[2:3], 5
	s_mov_b32 s6, 0
	global_store_dwordx2 v[69:70], v[65:66], off
.LBB1_29:                               ;   Parent Loop BB1_24 Depth=1
                                        ; =>  This Inner Loop Header: Depth=2
	s_add_i32 s7, s4, s5
	v_add_nc_u32_e32 v65, s5, v0
	v_mov_b32_e32 v69, s7
	v_mov_b32_e32 v77, s6
	s_add_u32 s2, s2, -1
	s_addc_u32 s3, s3, -1
	ds_read_b64 v[65:66], v65
	ds_read_b64 v[69:70], v69
	s_addk_i32 s6, 0xc8
	s_add_i32 s5, s5, 32
	s_cmp_lg_u64 s[2:3], 0
	s_waitcnt lgkmcnt(0)
	v_mul_f64 v[73:74], v[65:66], v[69:70]
	ds_read2_b64 v[69:72], v77 offset1:1
	v_mul_f64 v[65:66], v[25:26], v[73:74]
	v_mul_f64 v[75:76], v[5:6], v[65:66]
	;; [unrolled: 1-line block ×4, first 2 shown]
	s_waitcnt lgkmcnt(0)
	v_fma_f64 v[63:64], v[69:70], v[65:66], v[63:64]
	v_mul_f64 v[65:66], v[3:4], v[75:76]
	v_mul_f64 v[65:66], v[17:18], v[65:66]
	v_fma_f64 v[69:70], v[71:72], v[65:66], v[63:64]
	v_mul_f64 v[63:64], v[21:22], v[75:76]
	v_mul_f64 v[71:72], v[37:38], v[63:64]
	ds_read2_b64 v[63:66], v77 offset0:2 offset1:3
	s_waitcnt lgkmcnt(0)
	v_fma_f64 v[63:64], v[63:64], v[71:72], v[69:70]
	v_mul_f64 v[69:70], v[23:24], v[75:76]
	v_mul_f64 v[69:70], v[45:46], v[69:70]
	v_fma_f64 v[69:70], v[65:66], v[69:70], v[63:64]
	v_mul_f64 v[63:64], v[57:58], v[75:76]
	v_mul_f64 v[71:72], v[53:54], v[63:64]
	ds_read2_b64 v[63:66], v77 offset0:4 offset1:5
	s_waitcnt lgkmcnt(0)
	v_fma_f64 v[63:64], v[71:72], v[63:64], v[69:70]
	v_mul_f64 v[69:70], v[27:28], v[73:74]
	v_mul_f64 v[69:70], v[13:14], v[69:70]
	;; [unrolled: 1-line block ×4, first 2 shown]
	v_fma_f64 v[71:72], v[71:72], v[65:66], v[63:64]
	v_mul_f64 v[63:64], v[3:4], v[69:70]
	v_mul_f64 v[75:76], v[17:18], v[63:64]
	ds_read2_b64 v[63:66], v77 offset0:6 offset1:7
	s_waitcnt lgkmcnt(0)
	v_fma_f64 v[63:64], v[75:76], v[63:64], v[71:72]
	v_mul_f64 v[71:72], v[21:22], v[69:70]
	v_mul_f64 v[71:72], v[37:38], v[71:72]
	v_fma_f64 v[71:72], v[71:72], v[65:66], v[63:64]
	v_mul_f64 v[63:64], v[23:24], v[69:70]
	v_mul_f64 v[69:70], v[57:58], v[69:70]
	;; [unrolled: 1-line block ×3, first 2 shown]
	ds_read2_b64 v[63:66], v77 offset0:8 offset1:9
	v_mul_f64 v[69:70], v[53:54], v[69:70]
	s_waitcnt lgkmcnt(0)
	v_fma_f64 v[63:64], v[75:76], v[63:64], v[71:72]
	v_fma_f64 v[69:70], v[69:70], v[65:66], v[63:64]
	v_mul_f64 v[63:64], v[29:30], v[73:74]
	v_mul_f64 v[71:72], v[33:34], v[63:64]
	;; [unrolled: 1-line block ×4, first 2 shown]
	ds_read2_b64 v[63:66], v77 offset0:10 offset1:11
	s_waitcnt lgkmcnt(0)
	v_fma_f64 v[63:64], v[75:76], v[63:64], v[69:70]
	v_mul_f64 v[69:70], v[3:4], v[71:72]
	v_mul_f64 v[69:70], v[17:18], v[69:70]
	v_fma_f64 v[69:70], v[69:70], v[65:66], v[63:64]
	v_mul_f64 v[63:64], v[21:22], v[71:72]
	v_mul_f64 v[75:76], v[37:38], v[63:64]
	ds_read2_b64 v[63:66], v77 offset0:12 offset1:13
	s_waitcnt lgkmcnt(0)
	v_fma_f64 v[63:64], v[75:76], v[63:64], v[69:70]
	v_mul_f64 v[69:70], v[23:24], v[71:72]
	v_mul_f64 v[69:70], v[45:46], v[69:70]
	v_fma_f64 v[69:70], v[69:70], v[65:66], v[63:64]
	v_mul_f64 v[63:64], v[57:58], v[71:72]
	v_mul_f64 v[71:72], v[53:54], v[63:64]
	ds_read2_b64 v[63:66], v77 offset0:14 offset1:15
	s_waitcnt lgkmcnt(0)
	v_fma_f64 v[63:64], v[71:72], v[63:64], v[69:70]
	v_mul_f64 v[69:70], v[31:32], v[73:74]
	v_mul_f64 v[69:70], v[41:42], v[69:70]
	;; [unrolled: 1-line block ×4, first 2 shown]
	v_fma_f64 v[71:72], v[71:72], v[65:66], v[63:64]
	v_mul_f64 v[63:64], v[3:4], v[69:70]
	v_mul_f64 v[75:76], v[17:18], v[63:64]
	ds_read2_b64 v[63:66], v77 offset0:16 offset1:17
	s_waitcnt lgkmcnt(0)
	v_fma_f64 v[63:64], v[75:76], v[63:64], v[71:72]
	v_mul_f64 v[71:72], v[21:22], v[69:70]
	v_mul_f64 v[71:72], v[37:38], v[71:72]
	v_fma_f64 v[71:72], v[71:72], v[65:66], v[63:64]
	v_mul_f64 v[63:64], v[23:24], v[69:70]
	v_mul_f64 v[69:70], v[57:58], v[69:70]
	;; [unrolled: 1-line block ×3, first 2 shown]
	ds_read2_b64 v[63:66], v77 offset0:18 offset1:19
	v_mul_f64 v[69:70], v[53:54], v[69:70]
	s_waitcnt lgkmcnt(0)
	v_fma_f64 v[63:64], v[75:76], v[63:64], v[71:72]
	v_fma_f64 v[69:70], v[69:70], v[65:66], v[63:64]
	v_mul_f64 v[63:64], v[59:60], v[73:74]
	v_mul_f64 v[71:72], v[49:50], v[63:64]
	;; [unrolled: 1-line block ×4, first 2 shown]
	ds_read2_b64 v[63:66], v77 offset0:20 offset1:21
	s_waitcnt lgkmcnt(0)
	v_fma_f64 v[63:64], v[73:74], v[63:64], v[69:70]
	v_mul_f64 v[69:70], v[3:4], v[71:72]
	v_mul_f64 v[69:70], v[17:18], v[69:70]
	v_fma_f64 v[69:70], v[69:70], v[65:66], v[63:64]
	v_mul_f64 v[63:64], v[21:22], v[71:72]
	v_mul_f64 v[73:74], v[37:38], v[63:64]
	ds_read2_b64 v[63:66], v77 offset0:22 offset1:23
	s_waitcnt lgkmcnt(0)
	v_fma_f64 v[63:64], v[73:74], v[63:64], v[69:70]
	v_mul_f64 v[69:70], v[23:24], v[71:72]
	v_mul_f64 v[69:70], v[45:46], v[69:70]
	v_fma_f64 v[63:64], v[69:70], v[65:66], v[63:64]
	v_mul_f64 v[65:66], v[57:58], v[71:72]
	ds_read_b64 v[69:70], v77 offset:192
	v_mul_f64 v[65:66], v[53:54], v[65:66]
	s_waitcnt lgkmcnt(0)
	v_fma_f64 v[63:64], v[65:66], v[69:70], v[63:64]
	s_cbranch_scc1 .LBB1_29
; %bb.30:                               ;   in Loop: Header=BB1_24 Depth=1
	v_add_co_u32 v69, vcc_lo, 0x4000, v61
	v_mov_b32_e32 v65, 0
	v_add_co_ci_u32_e64 v70, null, 0, v62, vcc_lo
	v_mov_b32_e32 v66, 0
	s_mov_b32 s5, 0
	s_mov_b64 s[2:3], 5
	s_mov_b32 s6, 0
	global_store_dwordx2 v[69:70], v[63:64], off
.LBB1_31:                               ;   Parent Loop BB1_24 Depth=1
                                        ; =>  This Inner Loop Header: Depth=2
	s_add_i32 s7, s4, s5
	v_add_nc_u32_e32 v63, s5, v0
	v_mov_b32_e32 v69, s7
	v_mov_b32_e32 v77, s6
	s_add_u32 s2, s2, -1
	s_addc_u32 s3, s3, -1
	ds_read_b64 v[63:64], v63
	ds_read_b64 v[69:70], v69
	s_addk_i32 s6, 0xc8
	s_add_i32 s5, s5, 32
	s_cmp_lg_u64 s[2:3], 0
	s_waitcnt lgkmcnt(0)
	v_mul_f64 v[73:74], v[63:64], v[69:70]
	ds_read2_b64 v[69:72], v77 offset1:1
	v_mul_f64 v[63:64], v[25:26], v[73:74]
	v_mul_f64 v[75:76], v[5:6], v[63:64]
	;; [unrolled: 1-line block ×4, first 2 shown]
	s_waitcnt lgkmcnt(0)
	v_fma_f64 v[63:64], v[69:70], v[63:64], v[65:66]
	v_mul_f64 v[65:66], v[3:4], v[75:76]
	v_mul_f64 v[65:66], v[19:20], v[65:66]
	v_fma_f64 v[69:70], v[71:72], v[65:66], v[63:64]
	v_mul_f64 v[63:64], v[21:22], v[75:76]
	v_mul_f64 v[71:72], v[39:40], v[63:64]
	ds_read2_b64 v[63:66], v77 offset0:2 offset1:3
	s_waitcnt lgkmcnt(0)
	v_fma_f64 v[63:64], v[63:64], v[71:72], v[69:70]
	v_mul_f64 v[69:70], v[23:24], v[75:76]
	v_mul_f64 v[69:70], v[47:48], v[69:70]
	v_fma_f64 v[69:70], v[65:66], v[69:70], v[63:64]
	v_mul_f64 v[63:64], v[57:58], v[75:76]
	v_mul_f64 v[71:72], v[55:56], v[63:64]
	ds_read2_b64 v[63:66], v77 offset0:4 offset1:5
	s_waitcnt lgkmcnt(0)
	v_fma_f64 v[63:64], v[71:72], v[63:64], v[69:70]
	v_mul_f64 v[69:70], v[27:28], v[73:74]
	v_mul_f64 v[69:70], v[13:14], v[69:70]
	v_mul_f64 v[71:72], v[1:2], v[69:70]
	v_mul_f64 v[71:72], v[11:12], v[71:72]
	v_fma_f64 v[71:72], v[71:72], v[65:66], v[63:64]
	v_mul_f64 v[63:64], v[3:4], v[69:70]
	v_mul_f64 v[75:76], v[19:20], v[63:64]
	ds_read2_b64 v[63:66], v77 offset0:6 offset1:7
	s_waitcnt lgkmcnt(0)
	v_fma_f64 v[63:64], v[75:76], v[63:64], v[71:72]
	v_mul_f64 v[71:72], v[21:22], v[69:70]
	v_mul_f64 v[71:72], v[39:40], v[71:72]
	v_fma_f64 v[71:72], v[71:72], v[65:66], v[63:64]
	v_mul_f64 v[63:64], v[23:24], v[69:70]
	v_mul_f64 v[69:70], v[57:58], v[69:70]
	;; [unrolled: 1-line block ×3, first 2 shown]
	ds_read2_b64 v[63:66], v77 offset0:8 offset1:9
	v_mul_f64 v[69:70], v[55:56], v[69:70]
	s_waitcnt lgkmcnt(0)
	v_fma_f64 v[63:64], v[75:76], v[63:64], v[71:72]
	v_fma_f64 v[69:70], v[69:70], v[65:66], v[63:64]
	v_mul_f64 v[63:64], v[29:30], v[73:74]
	v_mul_f64 v[71:72], v[33:34], v[63:64]
	;; [unrolled: 1-line block ×4, first 2 shown]
	ds_read2_b64 v[63:66], v77 offset0:10 offset1:11
	s_waitcnt lgkmcnt(0)
	v_fma_f64 v[63:64], v[75:76], v[63:64], v[69:70]
	v_mul_f64 v[69:70], v[3:4], v[71:72]
	v_mul_f64 v[69:70], v[19:20], v[69:70]
	v_fma_f64 v[69:70], v[69:70], v[65:66], v[63:64]
	v_mul_f64 v[63:64], v[21:22], v[71:72]
	v_mul_f64 v[75:76], v[39:40], v[63:64]
	ds_read2_b64 v[63:66], v77 offset0:12 offset1:13
	s_waitcnt lgkmcnt(0)
	v_fma_f64 v[63:64], v[75:76], v[63:64], v[69:70]
	v_mul_f64 v[69:70], v[23:24], v[71:72]
	v_mul_f64 v[69:70], v[47:48], v[69:70]
	v_fma_f64 v[69:70], v[69:70], v[65:66], v[63:64]
	v_mul_f64 v[63:64], v[57:58], v[71:72]
	v_mul_f64 v[71:72], v[55:56], v[63:64]
	ds_read2_b64 v[63:66], v77 offset0:14 offset1:15
	s_waitcnt lgkmcnt(0)
	v_fma_f64 v[63:64], v[71:72], v[63:64], v[69:70]
	v_mul_f64 v[69:70], v[31:32], v[73:74]
	v_mul_f64 v[69:70], v[41:42], v[69:70]
	v_mul_f64 v[71:72], v[1:2], v[69:70]
	v_mul_f64 v[71:72], v[11:12], v[71:72]
	v_fma_f64 v[71:72], v[71:72], v[65:66], v[63:64]
	v_mul_f64 v[63:64], v[3:4], v[69:70]
	v_mul_f64 v[75:76], v[19:20], v[63:64]
	ds_read2_b64 v[63:66], v77 offset0:16 offset1:17
	s_waitcnt lgkmcnt(0)
	v_fma_f64 v[63:64], v[75:76], v[63:64], v[71:72]
	v_mul_f64 v[71:72], v[21:22], v[69:70]
	v_mul_f64 v[71:72], v[39:40], v[71:72]
	v_fma_f64 v[71:72], v[71:72], v[65:66], v[63:64]
	v_mul_f64 v[63:64], v[23:24], v[69:70]
	v_mul_f64 v[69:70], v[57:58], v[69:70]
	;; [unrolled: 1-line block ×3, first 2 shown]
	ds_read2_b64 v[63:66], v77 offset0:18 offset1:19
	v_mul_f64 v[69:70], v[55:56], v[69:70]
	s_waitcnt lgkmcnt(0)
	v_fma_f64 v[63:64], v[75:76], v[63:64], v[71:72]
	v_fma_f64 v[69:70], v[69:70], v[65:66], v[63:64]
	v_mul_f64 v[63:64], v[59:60], v[73:74]
	v_mul_f64 v[71:72], v[49:50], v[63:64]
	;; [unrolled: 1-line block ×4, first 2 shown]
	ds_read2_b64 v[63:66], v77 offset0:20 offset1:21
	s_waitcnt lgkmcnt(0)
	v_fma_f64 v[63:64], v[73:74], v[63:64], v[69:70]
	v_mul_f64 v[69:70], v[3:4], v[71:72]
	v_mul_f64 v[69:70], v[19:20], v[69:70]
	v_fma_f64 v[69:70], v[69:70], v[65:66], v[63:64]
	v_mul_f64 v[63:64], v[21:22], v[71:72]
	v_mul_f64 v[73:74], v[39:40], v[63:64]
	ds_read2_b64 v[63:66], v77 offset0:22 offset1:23
	s_waitcnt lgkmcnt(0)
	v_fma_f64 v[63:64], v[73:74], v[63:64], v[69:70]
	v_mul_f64 v[69:70], v[23:24], v[71:72]
	v_mul_f64 v[69:70], v[47:48], v[69:70]
	v_fma_f64 v[63:64], v[69:70], v[65:66], v[63:64]
	v_mul_f64 v[65:66], v[57:58], v[71:72]
	ds_read_b64 v[69:70], v77 offset:192
	v_mul_f64 v[65:66], v[55:56], v[65:66]
	s_waitcnt lgkmcnt(0)
	v_fma_f64 v[65:66], v[65:66], v[69:70], v[63:64]
	s_cbranch_scc1 .LBB1_31
; %bb.32:                               ;   in Loop: Header=BB1_24 Depth=1
	v_add_co_u32 v69, vcc_lo, 0x6000, v61
	v_mov_b32_e32 v63, 0
	v_add_co_ci_u32_e64 v70, null, 0, v62, vcc_lo
	v_mov_b32_e32 v64, 0
	s_mov_b32 s5, 0
	s_mov_b64 s[2:3], 5
	s_mov_b32 s6, 0
	global_store_dwordx2 v[69:70], v[65:66], off
.LBB1_33:                               ;   Parent Loop BB1_24 Depth=1
                                        ; =>  This Inner Loop Header: Depth=2
	s_add_i32 s7, s4, s5
	v_add_nc_u32_e32 v65, s5, v0
	v_mov_b32_e32 v69, s7
	v_mov_b32_e32 v77, s6
	s_add_u32 s2, s2, -1
	s_addc_u32 s3, s3, -1
	ds_read_b64 v[65:66], v65
	ds_read_b64 v[69:70], v69
	s_addk_i32 s6, 0xc8
	s_add_i32 s5, s5, 32
	s_cmp_lg_u64 s[2:3], 0
	s_waitcnt lgkmcnt(0)
	v_mul_f64 v[73:74], v[65:66], v[69:70]
	ds_read2_b64 v[69:72], v77 offset1:1
	v_mul_f64 v[65:66], v[25:26], v[73:74]
	v_mul_f64 v[75:76], v[7:8], v[65:66]
	;; [unrolled: 1-line block ×4, first 2 shown]
	s_waitcnt lgkmcnt(0)
	v_fma_f64 v[63:64], v[69:70], v[65:66], v[63:64]
	v_mul_f64 v[65:66], v[3:4], v[75:76]
	v_mul_f64 v[65:66], v[13:14], v[65:66]
	v_fma_f64 v[69:70], v[71:72], v[65:66], v[63:64]
	v_mul_f64 v[63:64], v[21:22], v[75:76]
	v_mul_f64 v[71:72], v[33:34], v[63:64]
	ds_read2_b64 v[63:66], v77 offset0:2 offset1:3
	s_waitcnt lgkmcnt(0)
	v_fma_f64 v[63:64], v[63:64], v[71:72], v[69:70]
	v_mul_f64 v[69:70], v[23:24], v[75:76]
	v_mul_f64 v[69:70], v[41:42], v[69:70]
	v_fma_f64 v[69:70], v[65:66], v[69:70], v[63:64]
	v_mul_f64 v[63:64], v[57:58], v[75:76]
	v_mul_f64 v[71:72], v[49:50], v[63:64]
	ds_read2_b64 v[63:66], v77 offset0:4 offset1:5
	s_waitcnt lgkmcnt(0)
	v_fma_f64 v[63:64], v[71:72], v[63:64], v[69:70]
	v_mul_f64 v[69:70], v[27:28], v[73:74]
	v_mul_f64 v[69:70], v[15:16], v[69:70]
	v_mul_f64 v[71:72], v[1:2], v[69:70]
	v_mul_f64 v[71:72], v[5:6], v[71:72]
	v_fma_f64 v[71:72], v[71:72], v[65:66], v[63:64]
	v_mul_f64 v[63:64], v[3:4], v[69:70]
	v_mul_f64 v[75:76], v[13:14], v[63:64]
	ds_read2_b64 v[63:66], v77 offset0:6 offset1:7
	s_waitcnt lgkmcnt(0)
	v_fma_f64 v[63:64], v[75:76], v[63:64], v[71:72]
	v_mul_f64 v[71:72], v[21:22], v[69:70]
	v_mul_f64 v[71:72], v[33:34], v[71:72]
	v_fma_f64 v[71:72], v[71:72], v[65:66], v[63:64]
	v_mul_f64 v[63:64], v[23:24], v[69:70]
	v_mul_f64 v[69:70], v[57:58], v[69:70]
	;; [unrolled: 1-line block ×3, first 2 shown]
	ds_read2_b64 v[63:66], v77 offset0:8 offset1:9
	v_mul_f64 v[69:70], v[49:50], v[69:70]
	s_waitcnt lgkmcnt(0)
	v_fma_f64 v[63:64], v[75:76], v[63:64], v[71:72]
	v_fma_f64 v[69:70], v[69:70], v[65:66], v[63:64]
	v_mul_f64 v[63:64], v[29:30], v[73:74]
	v_mul_f64 v[71:72], v[35:36], v[63:64]
	;; [unrolled: 1-line block ×4, first 2 shown]
	ds_read2_b64 v[63:66], v77 offset0:10 offset1:11
	s_waitcnt lgkmcnt(0)
	v_fma_f64 v[63:64], v[75:76], v[63:64], v[69:70]
	v_mul_f64 v[69:70], v[3:4], v[71:72]
	v_mul_f64 v[69:70], v[13:14], v[69:70]
	v_fma_f64 v[69:70], v[69:70], v[65:66], v[63:64]
	v_mul_f64 v[63:64], v[21:22], v[71:72]
	v_mul_f64 v[75:76], v[33:34], v[63:64]
	ds_read2_b64 v[63:66], v77 offset0:12 offset1:13
	s_waitcnt lgkmcnt(0)
	v_fma_f64 v[63:64], v[75:76], v[63:64], v[69:70]
	v_mul_f64 v[69:70], v[23:24], v[71:72]
	v_mul_f64 v[69:70], v[41:42], v[69:70]
	v_fma_f64 v[69:70], v[69:70], v[65:66], v[63:64]
	v_mul_f64 v[63:64], v[57:58], v[71:72]
	v_mul_f64 v[71:72], v[49:50], v[63:64]
	ds_read2_b64 v[63:66], v77 offset0:14 offset1:15
	s_waitcnt lgkmcnt(0)
	v_fma_f64 v[63:64], v[71:72], v[63:64], v[69:70]
	v_mul_f64 v[69:70], v[31:32], v[73:74]
	v_mul_f64 v[69:70], v[43:44], v[69:70]
	;; [unrolled: 1-line block ×4, first 2 shown]
	v_fma_f64 v[71:72], v[71:72], v[65:66], v[63:64]
	v_mul_f64 v[63:64], v[3:4], v[69:70]
	v_mul_f64 v[75:76], v[13:14], v[63:64]
	ds_read2_b64 v[63:66], v77 offset0:16 offset1:17
	s_waitcnt lgkmcnt(0)
	v_fma_f64 v[63:64], v[75:76], v[63:64], v[71:72]
	v_mul_f64 v[71:72], v[21:22], v[69:70]
	v_mul_f64 v[71:72], v[33:34], v[71:72]
	v_fma_f64 v[71:72], v[71:72], v[65:66], v[63:64]
	v_mul_f64 v[63:64], v[23:24], v[69:70]
	v_mul_f64 v[69:70], v[57:58], v[69:70]
	;; [unrolled: 1-line block ×3, first 2 shown]
	ds_read2_b64 v[63:66], v77 offset0:18 offset1:19
	v_mul_f64 v[69:70], v[49:50], v[69:70]
	s_waitcnt lgkmcnt(0)
	v_fma_f64 v[63:64], v[75:76], v[63:64], v[71:72]
	v_fma_f64 v[69:70], v[69:70], v[65:66], v[63:64]
	v_mul_f64 v[63:64], v[59:60], v[73:74]
	v_mul_f64 v[71:72], v[51:52], v[63:64]
	;; [unrolled: 1-line block ×4, first 2 shown]
	ds_read2_b64 v[63:66], v77 offset0:20 offset1:21
	s_waitcnt lgkmcnt(0)
	v_fma_f64 v[63:64], v[73:74], v[63:64], v[69:70]
	v_mul_f64 v[69:70], v[3:4], v[71:72]
	v_mul_f64 v[69:70], v[13:14], v[69:70]
	v_fma_f64 v[69:70], v[69:70], v[65:66], v[63:64]
	v_mul_f64 v[63:64], v[21:22], v[71:72]
	v_mul_f64 v[73:74], v[33:34], v[63:64]
	ds_read2_b64 v[63:66], v77 offset0:22 offset1:23
	s_waitcnt lgkmcnt(0)
	v_fma_f64 v[63:64], v[73:74], v[63:64], v[69:70]
	v_mul_f64 v[69:70], v[23:24], v[71:72]
	v_mul_f64 v[69:70], v[41:42], v[69:70]
	v_fma_f64 v[63:64], v[69:70], v[65:66], v[63:64]
	v_mul_f64 v[65:66], v[57:58], v[71:72]
	ds_read_b64 v[69:70], v77 offset:192
	v_mul_f64 v[65:66], v[49:50], v[65:66]
	s_waitcnt lgkmcnt(0)
	v_fma_f64 v[63:64], v[65:66], v[69:70], v[63:64]
	s_cbranch_scc1 .LBB1_33
; %bb.34:                               ;   in Loop: Header=BB1_24 Depth=1
	v_add_co_u32 v69, vcc_lo, 0x800, v61
	v_mov_b32_e32 v65, 0
	v_add_co_ci_u32_e64 v70, null, 0, v62, vcc_lo
	v_mov_b32_e32 v66, 0
	s_mov_b32 s5, 0
	s_mov_b64 s[2:3], 5
	s_mov_b32 s6, 0
	global_store_dwordx2 v[69:70], v[63:64], off
.LBB1_35:                               ;   Parent Loop BB1_24 Depth=1
                                        ; =>  This Inner Loop Header: Depth=2
	s_add_i32 s7, s4, s5
	v_add_nc_u32_e32 v63, s5, v0
	v_mov_b32_e32 v69, s7
	v_mov_b32_e32 v77, s6
	s_add_u32 s2, s2, -1
	s_addc_u32 s3, s3, -1
	ds_read_b64 v[63:64], v63
	ds_read_b64 v[69:70], v69
	s_addk_i32 s6, 0xc8
	s_add_i32 s5, s5, 32
	s_cmp_lg_u64 s[2:3], 0
	s_waitcnt lgkmcnt(0)
	v_mul_f64 v[73:74], v[63:64], v[69:70]
	ds_read2_b64 v[69:72], v77 offset1:1
	v_mul_f64 v[63:64], v[25:26], v[73:74]
	v_mul_f64 v[75:76], v[7:8], v[63:64]
	;; [unrolled: 1-line block ×4, first 2 shown]
	s_waitcnt lgkmcnt(0)
	v_fma_f64 v[63:64], v[69:70], v[63:64], v[65:66]
	v_mul_f64 v[65:66], v[3:4], v[75:76]
	v_mul_f64 v[65:66], v[15:16], v[65:66]
	v_fma_f64 v[69:70], v[71:72], v[65:66], v[63:64]
	v_mul_f64 v[63:64], v[21:22], v[75:76]
	v_mul_f64 v[71:72], v[35:36], v[63:64]
	ds_read2_b64 v[63:66], v77 offset0:2 offset1:3
	s_waitcnt lgkmcnt(0)
	v_fma_f64 v[63:64], v[63:64], v[71:72], v[69:70]
	v_mul_f64 v[69:70], v[23:24], v[75:76]
	v_mul_f64 v[69:70], v[43:44], v[69:70]
	v_fma_f64 v[69:70], v[65:66], v[69:70], v[63:64]
	v_mul_f64 v[63:64], v[57:58], v[75:76]
	v_mul_f64 v[71:72], v[51:52], v[63:64]
	ds_read2_b64 v[63:66], v77 offset0:4 offset1:5
	s_waitcnt lgkmcnt(0)
	v_fma_f64 v[63:64], v[71:72], v[63:64], v[69:70]
	v_mul_f64 v[69:70], v[27:28], v[73:74]
	v_mul_f64 v[69:70], v[15:16], v[69:70]
	;; [unrolled: 1-line block ×4, first 2 shown]
	v_fma_f64 v[71:72], v[71:72], v[65:66], v[63:64]
	v_mul_f64 v[63:64], v[3:4], v[69:70]
	v_mul_f64 v[75:76], v[15:16], v[63:64]
	ds_read2_b64 v[63:66], v77 offset0:6 offset1:7
	s_waitcnt lgkmcnt(0)
	v_fma_f64 v[63:64], v[75:76], v[63:64], v[71:72]
	v_mul_f64 v[71:72], v[21:22], v[69:70]
	v_mul_f64 v[71:72], v[35:36], v[71:72]
	v_fma_f64 v[71:72], v[71:72], v[65:66], v[63:64]
	v_mul_f64 v[63:64], v[23:24], v[69:70]
	v_mul_f64 v[69:70], v[57:58], v[69:70]
	v_mul_f64 v[75:76], v[43:44], v[63:64]
	ds_read2_b64 v[63:66], v77 offset0:8 offset1:9
	v_mul_f64 v[69:70], v[51:52], v[69:70]
	s_waitcnt lgkmcnt(0)
	v_fma_f64 v[63:64], v[75:76], v[63:64], v[71:72]
	v_fma_f64 v[69:70], v[69:70], v[65:66], v[63:64]
	v_mul_f64 v[63:64], v[29:30], v[73:74]
	v_mul_f64 v[71:72], v[35:36], v[63:64]
	;; [unrolled: 1-line block ×4, first 2 shown]
	ds_read2_b64 v[63:66], v77 offset0:10 offset1:11
	s_waitcnt lgkmcnt(0)
	v_fma_f64 v[63:64], v[75:76], v[63:64], v[69:70]
	v_mul_f64 v[69:70], v[3:4], v[71:72]
	v_mul_f64 v[69:70], v[15:16], v[69:70]
	v_fma_f64 v[69:70], v[69:70], v[65:66], v[63:64]
	v_mul_f64 v[63:64], v[21:22], v[71:72]
	v_mul_f64 v[75:76], v[35:36], v[63:64]
	ds_read2_b64 v[63:66], v77 offset0:12 offset1:13
	s_waitcnt lgkmcnt(0)
	v_fma_f64 v[63:64], v[75:76], v[63:64], v[69:70]
	v_mul_f64 v[69:70], v[23:24], v[71:72]
	v_mul_f64 v[69:70], v[43:44], v[69:70]
	v_fma_f64 v[69:70], v[69:70], v[65:66], v[63:64]
	v_mul_f64 v[63:64], v[57:58], v[71:72]
	v_mul_f64 v[71:72], v[51:52], v[63:64]
	ds_read2_b64 v[63:66], v77 offset0:14 offset1:15
	s_waitcnt lgkmcnt(0)
	v_fma_f64 v[63:64], v[71:72], v[63:64], v[69:70]
	v_mul_f64 v[69:70], v[31:32], v[73:74]
	v_mul_f64 v[69:70], v[43:44], v[69:70]
	;; [unrolled: 1-line block ×4, first 2 shown]
	v_fma_f64 v[71:72], v[71:72], v[65:66], v[63:64]
	v_mul_f64 v[63:64], v[3:4], v[69:70]
	v_mul_f64 v[75:76], v[15:16], v[63:64]
	ds_read2_b64 v[63:66], v77 offset0:16 offset1:17
	s_waitcnt lgkmcnt(0)
	v_fma_f64 v[63:64], v[75:76], v[63:64], v[71:72]
	v_mul_f64 v[71:72], v[21:22], v[69:70]
	v_mul_f64 v[71:72], v[35:36], v[71:72]
	v_fma_f64 v[71:72], v[71:72], v[65:66], v[63:64]
	v_mul_f64 v[63:64], v[23:24], v[69:70]
	v_mul_f64 v[69:70], v[57:58], v[69:70]
	;; [unrolled: 1-line block ×3, first 2 shown]
	ds_read2_b64 v[63:66], v77 offset0:18 offset1:19
	v_mul_f64 v[69:70], v[51:52], v[69:70]
	s_waitcnt lgkmcnt(0)
	v_fma_f64 v[63:64], v[75:76], v[63:64], v[71:72]
	v_fma_f64 v[69:70], v[69:70], v[65:66], v[63:64]
	v_mul_f64 v[63:64], v[59:60], v[73:74]
	v_mul_f64 v[71:72], v[51:52], v[63:64]
	;; [unrolled: 1-line block ×4, first 2 shown]
	ds_read2_b64 v[63:66], v77 offset0:20 offset1:21
	s_waitcnt lgkmcnt(0)
	v_fma_f64 v[63:64], v[73:74], v[63:64], v[69:70]
	v_mul_f64 v[69:70], v[3:4], v[71:72]
	v_mul_f64 v[69:70], v[15:16], v[69:70]
	v_fma_f64 v[69:70], v[69:70], v[65:66], v[63:64]
	v_mul_f64 v[63:64], v[21:22], v[71:72]
	v_mul_f64 v[73:74], v[35:36], v[63:64]
	ds_read2_b64 v[63:66], v77 offset0:22 offset1:23
	s_waitcnt lgkmcnt(0)
	v_fma_f64 v[63:64], v[73:74], v[63:64], v[69:70]
	v_mul_f64 v[69:70], v[23:24], v[71:72]
	v_mul_f64 v[69:70], v[43:44], v[69:70]
	v_fma_f64 v[63:64], v[69:70], v[65:66], v[63:64]
	v_mul_f64 v[65:66], v[57:58], v[71:72]
	ds_read_b64 v[69:70], v77 offset:192
	v_mul_f64 v[65:66], v[51:52], v[65:66]
	s_waitcnt lgkmcnt(0)
	v_fma_f64 v[65:66], v[65:66], v[69:70], v[63:64]
	s_cbranch_scc1 .LBB1_35
; %bb.36:                               ;   in Loop: Header=BB1_24 Depth=1
	v_add_co_u32 v69, vcc_lo, 0x2800, v61
	v_mov_b32_e32 v63, 0
	v_add_co_ci_u32_e64 v70, null, 0, v62, vcc_lo
	v_mov_b32_e32 v64, 0
	s_mov_b32 s5, 0
	s_mov_b64 s[2:3], 5
	s_mov_b32 s6, 0
	global_store_dwordx2 v[69:70], v[65:66], off
.LBB1_37:                               ;   Parent Loop BB1_24 Depth=1
                                        ; =>  This Inner Loop Header: Depth=2
	s_add_i32 s7, s4, s5
	v_add_nc_u32_e32 v65, s5, v0
	v_mov_b32_e32 v69, s7
	v_mov_b32_e32 v77, s6
	s_add_u32 s2, s2, -1
	s_addc_u32 s3, s3, -1
	ds_read_b64 v[65:66], v65
	ds_read_b64 v[69:70], v69
	s_addk_i32 s6, 0xc8
	s_add_i32 s5, s5, 32
	s_cmp_lg_u64 s[2:3], 0
	s_waitcnt lgkmcnt(0)
	v_mul_f64 v[73:74], v[65:66], v[69:70]
	ds_read2_b64 v[69:72], v77 offset1:1
	v_mul_f64 v[65:66], v[25:26], v[73:74]
	v_mul_f64 v[75:76], v[7:8], v[65:66]
	;; [unrolled: 1-line block ×4, first 2 shown]
	s_waitcnt lgkmcnt(0)
	v_fma_f64 v[63:64], v[69:70], v[65:66], v[63:64]
	v_mul_f64 v[65:66], v[3:4], v[75:76]
	v_mul_f64 v[65:66], v[17:18], v[65:66]
	v_fma_f64 v[69:70], v[71:72], v[65:66], v[63:64]
	v_mul_f64 v[63:64], v[21:22], v[75:76]
	v_mul_f64 v[71:72], v[37:38], v[63:64]
	ds_read2_b64 v[63:66], v77 offset0:2 offset1:3
	s_waitcnt lgkmcnt(0)
	v_fma_f64 v[63:64], v[63:64], v[71:72], v[69:70]
	v_mul_f64 v[69:70], v[23:24], v[75:76]
	v_mul_f64 v[69:70], v[45:46], v[69:70]
	v_fma_f64 v[69:70], v[65:66], v[69:70], v[63:64]
	v_mul_f64 v[63:64], v[57:58], v[75:76]
	v_mul_f64 v[71:72], v[53:54], v[63:64]
	ds_read2_b64 v[63:66], v77 offset0:4 offset1:5
	s_waitcnt lgkmcnt(0)
	v_fma_f64 v[63:64], v[71:72], v[63:64], v[69:70]
	v_mul_f64 v[69:70], v[27:28], v[73:74]
	v_mul_f64 v[69:70], v[15:16], v[69:70]
	;; [unrolled: 1-line block ×4, first 2 shown]
	v_fma_f64 v[71:72], v[71:72], v[65:66], v[63:64]
	v_mul_f64 v[63:64], v[3:4], v[69:70]
	v_mul_f64 v[75:76], v[17:18], v[63:64]
	ds_read2_b64 v[63:66], v77 offset0:6 offset1:7
	s_waitcnt lgkmcnt(0)
	v_fma_f64 v[63:64], v[75:76], v[63:64], v[71:72]
	v_mul_f64 v[71:72], v[21:22], v[69:70]
	v_mul_f64 v[71:72], v[37:38], v[71:72]
	v_fma_f64 v[71:72], v[71:72], v[65:66], v[63:64]
	v_mul_f64 v[63:64], v[23:24], v[69:70]
	v_mul_f64 v[69:70], v[57:58], v[69:70]
	v_mul_f64 v[75:76], v[45:46], v[63:64]
	ds_read2_b64 v[63:66], v77 offset0:8 offset1:9
	v_mul_f64 v[69:70], v[53:54], v[69:70]
	s_waitcnt lgkmcnt(0)
	v_fma_f64 v[63:64], v[75:76], v[63:64], v[71:72]
	v_fma_f64 v[69:70], v[69:70], v[65:66], v[63:64]
	v_mul_f64 v[63:64], v[29:30], v[73:74]
	v_mul_f64 v[71:72], v[35:36], v[63:64]
	;; [unrolled: 1-line block ×4, first 2 shown]
	ds_read2_b64 v[63:66], v77 offset0:10 offset1:11
	s_waitcnt lgkmcnt(0)
	v_fma_f64 v[63:64], v[75:76], v[63:64], v[69:70]
	v_mul_f64 v[69:70], v[3:4], v[71:72]
	v_mul_f64 v[69:70], v[17:18], v[69:70]
	v_fma_f64 v[69:70], v[69:70], v[65:66], v[63:64]
	v_mul_f64 v[63:64], v[21:22], v[71:72]
	v_mul_f64 v[75:76], v[37:38], v[63:64]
	ds_read2_b64 v[63:66], v77 offset0:12 offset1:13
	s_waitcnt lgkmcnt(0)
	v_fma_f64 v[63:64], v[75:76], v[63:64], v[69:70]
	v_mul_f64 v[69:70], v[23:24], v[71:72]
	v_mul_f64 v[69:70], v[45:46], v[69:70]
	v_fma_f64 v[69:70], v[69:70], v[65:66], v[63:64]
	v_mul_f64 v[63:64], v[57:58], v[71:72]
	v_mul_f64 v[71:72], v[53:54], v[63:64]
	ds_read2_b64 v[63:66], v77 offset0:14 offset1:15
	s_waitcnt lgkmcnt(0)
	v_fma_f64 v[63:64], v[71:72], v[63:64], v[69:70]
	v_mul_f64 v[69:70], v[31:32], v[73:74]
	v_mul_f64 v[69:70], v[43:44], v[69:70]
	;; [unrolled: 1-line block ×4, first 2 shown]
	v_fma_f64 v[71:72], v[71:72], v[65:66], v[63:64]
	v_mul_f64 v[63:64], v[3:4], v[69:70]
	v_mul_f64 v[75:76], v[17:18], v[63:64]
	ds_read2_b64 v[63:66], v77 offset0:16 offset1:17
	s_waitcnt lgkmcnt(0)
	v_fma_f64 v[63:64], v[75:76], v[63:64], v[71:72]
	v_mul_f64 v[71:72], v[21:22], v[69:70]
	v_mul_f64 v[71:72], v[37:38], v[71:72]
	v_fma_f64 v[71:72], v[71:72], v[65:66], v[63:64]
	v_mul_f64 v[63:64], v[23:24], v[69:70]
	v_mul_f64 v[69:70], v[57:58], v[69:70]
	;; [unrolled: 1-line block ×3, first 2 shown]
	ds_read2_b64 v[63:66], v77 offset0:18 offset1:19
	v_mul_f64 v[69:70], v[53:54], v[69:70]
	s_waitcnt lgkmcnt(0)
	v_fma_f64 v[63:64], v[75:76], v[63:64], v[71:72]
	v_fma_f64 v[69:70], v[69:70], v[65:66], v[63:64]
	v_mul_f64 v[63:64], v[59:60], v[73:74]
	v_mul_f64 v[71:72], v[51:52], v[63:64]
	;; [unrolled: 1-line block ×4, first 2 shown]
	ds_read2_b64 v[63:66], v77 offset0:20 offset1:21
	s_waitcnt lgkmcnt(0)
	v_fma_f64 v[63:64], v[73:74], v[63:64], v[69:70]
	v_mul_f64 v[69:70], v[3:4], v[71:72]
	v_mul_f64 v[69:70], v[17:18], v[69:70]
	v_fma_f64 v[69:70], v[69:70], v[65:66], v[63:64]
	v_mul_f64 v[63:64], v[21:22], v[71:72]
	v_mul_f64 v[73:74], v[37:38], v[63:64]
	ds_read2_b64 v[63:66], v77 offset0:22 offset1:23
	s_waitcnt lgkmcnt(0)
	v_fma_f64 v[63:64], v[73:74], v[63:64], v[69:70]
	v_mul_f64 v[69:70], v[23:24], v[71:72]
	v_mul_f64 v[69:70], v[45:46], v[69:70]
	v_fma_f64 v[63:64], v[69:70], v[65:66], v[63:64]
	v_mul_f64 v[65:66], v[57:58], v[71:72]
	ds_read_b64 v[69:70], v77 offset:192
	v_mul_f64 v[65:66], v[53:54], v[65:66]
	s_waitcnt lgkmcnt(0)
	v_fma_f64 v[63:64], v[65:66], v[69:70], v[63:64]
	s_cbranch_scc1 .LBB1_37
; %bb.38:                               ;   in Loop: Header=BB1_24 Depth=1
	v_add_co_u32 v69, vcc_lo, 0x4800, v61
	v_mov_b32_e32 v65, 0
	v_add_co_ci_u32_e64 v70, null, 0, v62, vcc_lo
	v_mov_b32_e32 v66, 0
	s_mov_b32 s5, 0
	s_mov_b64 s[2:3], 5
	s_mov_b32 s6, 0
	global_store_dwordx2 v[69:70], v[63:64], off
.LBB1_39:                               ;   Parent Loop BB1_24 Depth=1
                                        ; =>  This Inner Loop Header: Depth=2
	s_add_i32 s7, s4, s5
	v_add_nc_u32_e32 v63, s5, v0
	v_mov_b32_e32 v69, s7
	v_mov_b32_e32 v77, s6
	s_add_u32 s2, s2, -1
	s_addc_u32 s3, s3, -1
	ds_read_b64 v[63:64], v63
	ds_read_b64 v[69:70], v69
	s_addk_i32 s6, 0xc8
	s_add_i32 s5, s5, 32
	s_cmp_lg_u64 s[2:3], 0
	s_waitcnt lgkmcnt(0)
	v_mul_f64 v[73:74], v[63:64], v[69:70]
	ds_read2_b64 v[69:72], v77 offset1:1
	v_mul_f64 v[63:64], v[25:26], v[73:74]
	v_mul_f64 v[75:76], v[7:8], v[63:64]
	;; [unrolled: 1-line block ×4, first 2 shown]
	s_waitcnt lgkmcnt(0)
	v_fma_f64 v[63:64], v[69:70], v[63:64], v[65:66]
	v_mul_f64 v[65:66], v[3:4], v[75:76]
	v_mul_f64 v[65:66], v[19:20], v[65:66]
	v_fma_f64 v[69:70], v[71:72], v[65:66], v[63:64]
	v_mul_f64 v[63:64], v[21:22], v[75:76]
	v_mul_f64 v[71:72], v[39:40], v[63:64]
	ds_read2_b64 v[63:66], v77 offset0:2 offset1:3
	s_waitcnt lgkmcnt(0)
	v_fma_f64 v[63:64], v[63:64], v[71:72], v[69:70]
	v_mul_f64 v[69:70], v[23:24], v[75:76]
	v_mul_f64 v[69:70], v[47:48], v[69:70]
	v_fma_f64 v[69:70], v[65:66], v[69:70], v[63:64]
	v_mul_f64 v[63:64], v[57:58], v[75:76]
	v_mul_f64 v[71:72], v[55:56], v[63:64]
	ds_read2_b64 v[63:66], v77 offset0:4 offset1:5
	s_waitcnt lgkmcnt(0)
	v_fma_f64 v[63:64], v[71:72], v[63:64], v[69:70]
	v_mul_f64 v[69:70], v[27:28], v[73:74]
	v_mul_f64 v[69:70], v[15:16], v[69:70]
	;; [unrolled: 1-line block ×4, first 2 shown]
	v_fma_f64 v[71:72], v[71:72], v[65:66], v[63:64]
	v_mul_f64 v[63:64], v[3:4], v[69:70]
	v_mul_f64 v[75:76], v[19:20], v[63:64]
	ds_read2_b64 v[63:66], v77 offset0:6 offset1:7
	s_waitcnt lgkmcnt(0)
	v_fma_f64 v[63:64], v[75:76], v[63:64], v[71:72]
	v_mul_f64 v[71:72], v[21:22], v[69:70]
	v_mul_f64 v[71:72], v[39:40], v[71:72]
	v_fma_f64 v[71:72], v[71:72], v[65:66], v[63:64]
	v_mul_f64 v[63:64], v[23:24], v[69:70]
	v_mul_f64 v[69:70], v[57:58], v[69:70]
	;; [unrolled: 1-line block ×3, first 2 shown]
	ds_read2_b64 v[63:66], v77 offset0:8 offset1:9
	v_mul_f64 v[69:70], v[55:56], v[69:70]
	s_waitcnt lgkmcnt(0)
	v_fma_f64 v[63:64], v[75:76], v[63:64], v[71:72]
	v_fma_f64 v[69:70], v[69:70], v[65:66], v[63:64]
	v_mul_f64 v[63:64], v[29:30], v[73:74]
	v_mul_f64 v[71:72], v[35:36], v[63:64]
	;; [unrolled: 1-line block ×4, first 2 shown]
	ds_read2_b64 v[63:66], v77 offset0:10 offset1:11
	s_waitcnt lgkmcnt(0)
	v_fma_f64 v[63:64], v[75:76], v[63:64], v[69:70]
	v_mul_f64 v[69:70], v[3:4], v[71:72]
	v_mul_f64 v[69:70], v[19:20], v[69:70]
	v_fma_f64 v[69:70], v[69:70], v[65:66], v[63:64]
	v_mul_f64 v[63:64], v[21:22], v[71:72]
	v_mul_f64 v[75:76], v[39:40], v[63:64]
	ds_read2_b64 v[63:66], v77 offset0:12 offset1:13
	s_waitcnt lgkmcnt(0)
	v_fma_f64 v[63:64], v[75:76], v[63:64], v[69:70]
	v_mul_f64 v[69:70], v[23:24], v[71:72]
	v_mul_f64 v[69:70], v[47:48], v[69:70]
	v_fma_f64 v[69:70], v[69:70], v[65:66], v[63:64]
	v_mul_f64 v[63:64], v[57:58], v[71:72]
	v_mul_f64 v[71:72], v[55:56], v[63:64]
	ds_read2_b64 v[63:66], v77 offset0:14 offset1:15
	s_waitcnt lgkmcnt(0)
	v_fma_f64 v[63:64], v[71:72], v[63:64], v[69:70]
	v_mul_f64 v[69:70], v[31:32], v[73:74]
	v_mul_f64 v[69:70], v[43:44], v[69:70]
	;; [unrolled: 1-line block ×4, first 2 shown]
	v_fma_f64 v[71:72], v[71:72], v[65:66], v[63:64]
	v_mul_f64 v[63:64], v[3:4], v[69:70]
	v_mul_f64 v[75:76], v[19:20], v[63:64]
	ds_read2_b64 v[63:66], v77 offset0:16 offset1:17
	s_waitcnt lgkmcnt(0)
	v_fma_f64 v[63:64], v[75:76], v[63:64], v[71:72]
	v_mul_f64 v[71:72], v[21:22], v[69:70]
	v_mul_f64 v[71:72], v[39:40], v[71:72]
	v_fma_f64 v[71:72], v[71:72], v[65:66], v[63:64]
	v_mul_f64 v[63:64], v[23:24], v[69:70]
	v_mul_f64 v[69:70], v[57:58], v[69:70]
	;; [unrolled: 1-line block ×3, first 2 shown]
	ds_read2_b64 v[63:66], v77 offset0:18 offset1:19
	v_mul_f64 v[69:70], v[55:56], v[69:70]
	s_waitcnt lgkmcnt(0)
	v_fma_f64 v[63:64], v[75:76], v[63:64], v[71:72]
	v_fma_f64 v[69:70], v[69:70], v[65:66], v[63:64]
	v_mul_f64 v[63:64], v[59:60], v[73:74]
	v_mul_f64 v[71:72], v[51:52], v[63:64]
	;; [unrolled: 1-line block ×4, first 2 shown]
	ds_read2_b64 v[63:66], v77 offset0:20 offset1:21
	s_waitcnt lgkmcnt(0)
	v_fma_f64 v[63:64], v[73:74], v[63:64], v[69:70]
	v_mul_f64 v[69:70], v[3:4], v[71:72]
	v_mul_f64 v[69:70], v[19:20], v[69:70]
	v_fma_f64 v[69:70], v[69:70], v[65:66], v[63:64]
	v_mul_f64 v[63:64], v[21:22], v[71:72]
	v_mul_f64 v[73:74], v[39:40], v[63:64]
	ds_read2_b64 v[63:66], v77 offset0:22 offset1:23
	s_waitcnt lgkmcnt(0)
	v_fma_f64 v[63:64], v[73:74], v[63:64], v[69:70]
	v_mul_f64 v[69:70], v[23:24], v[71:72]
	v_mul_f64 v[69:70], v[47:48], v[69:70]
	v_fma_f64 v[63:64], v[69:70], v[65:66], v[63:64]
	v_mul_f64 v[65:66], v[57:58], v[71:72]
	ds_read_b64 v[69:70], v77 offset:192
	v_mul_f64 v[65:66], v[55:56], v[65:66]
	s_waitcnt lgkmcnt(0)
	v_fma_f64 v[65:66], v[65:66], v[69:70], v[63:64]
	s_cbranch_scc1 .LBB1_39
; %bb.40:                               ;   in Loop: Header=BB1_24 Depth=1
	v_add_co_u32 v69, vcc_lo, 0x6800, v61
	v_mov_b32_e32 v63, 0
	v_add_co_ci_u32_e64 v70, null, 0, v62, vcc_lo
	v_mov_b32_e32 v64, 0
	s_mov_b32 s5, 0
	s_mov_b64 s[2:3], 5
	s_mov_b32 s6, 0
	global_store_dwordx2 v[69:70], v[65:66], off
.LBB1_41:                               ;   Parent Loop BB1_24 Depth=1
                                        ; =>  This Inner Loop Header: Depth=2
	s_add_i32 s7, s4, s5
	v_add_nc_u32_e32 v65, s5, v0
	v_mov_b32_e32 v69, s7
	v_mov_b32_e32 v77, s6
	s_add_u32 s2, s2, -1
	s_addc_u32 s3, s3, -1
	ds_read_b64 v[65:66], v65
	ds_read_b64 v[69:70], v69
	s_addk_i32 s6, 0xc8
	s_add_i32 s5, s5, 32
	s_cmp_lg_u64 s[2:3], 0
	s_waitcnt lgkmcnt(0)
	v_mul_f64 v[73:74], v[65:66], v[69:70]
	ds_read2_b64 v[69:72], v77 offset1:1
	v_mul_f64 v[65:66], v[25:26], v[73:74]
	v_mul_f64 v[75:76], v[9:10], v[65:66]
	;; [unrolled: 1-line block ×4, first 2 shown]
	s_waitcnt lgkmcnt(0)
	v_fma_f64 v[63:64], v[69:70], v[65:66], v[63:64]
	v_mul_f64 v[65:66], v[3:4], v[75:76]
	v_mul_f64 v[65:66], v[13:14], v[65:66]
	v_fma_f64 v[69:70], v[71:72], v[65:66], v[63:64]
	v_mul_f64 v[63:64], v[21:22], v[75:76]
	v_mul_f64 v[71:72], v[33:34], v[63:64]
	ds_read2_b64 v[63:66], v77 offset0:2 offset1:3
	s_waitcnt lgkmcnt(0)
	v_fma_f64 v[63:64], v[63:64], v[71:72], v[69:70]
	v_mul_f64 v[69:70], v[23:24], v[75:76]
	v_mul_f64 v[69:70], v[41:42], v[69:70]
	v_fma_f64 v[69:70], v[65:66], v[69:70], v[63:64]
	v_mul_f64 v[63:64], v[57:58], v[75:76]
	v_mul_f64 v[71:72], v[49:50], v[63:64]
	ds_read2_b64 v[63:66], v77 offset0:4 offset1:5
	s_waitcnt lgkmcnt(0)
	v_fma_f64 v[63:64], v[71:72], v[63:64], v[69:70]
	v_mul_f64 v[69:70], v[27:28], v[73:74]
	v_mul_f64 v[69:70], v[17:18], v[69:70]
	v_mul_f64 v[71:72], v[1:2], v[69:70]
	v_mul_f64 v[71:72], v[5:6], v[71:72]
	v_fma_f64 v[71:72], v[71:72], v[65:66], v[63:64]
	v_mul_f64 v[63:64], v[3:4], v[69:70]
	v_mul_f64 v[75:76], v[13:14], v[63:64]
	ds_read2_b64 v[63:66], v77 offset0:6 offset1:7
	s_waitcnt lgkmcnt(0)
	v_fma_f64 v[63:64], v[75:76], v[63:64], v[71:72]
	v_mul_f64 v[71:72], v[21:22], v[69:70]
	v_mul_f64 v[71:72], v[33:34], v[71:72]
	v_fma_f64 v[71:72], v[71:72], v[65:66], v[63:64]
	v_mul_f64 v[63:64], v[23:24], v[69:70]
	v_mul_f64 v[69:70], v[57:58], v[69:70]
	;; [unrolled: 1-line block ×3, first 2 shown]
	ds_read2_b64 v[63:66], v77 offset0:8 offset1:9
	v_mul_f64 v[69:70], v[49:50], v[69:70]
	s_waitcnt lgkmcnt(0)
	v_fma_f64 v[63:64], v[75:76], v[63:64], v[71:72]
	v_fma_f64 v[69:70], v[69:70], v[65:66], v[63:64]
	v_mul_f64 v[63:64], v[29:30], v[73:74]
	v_mul_f64 v[71:72], v[37:38], v[63:64]
	;; [unrolled: 1-line block ×4, first 2 shown]
	ds_read2_b64 v[63:66], v77 offset0:10 offset1:11
	s_waitcnt lgkmcnt(0)
	v_fma_f64 v[63:64], v[75:76], v[63:64], v[69:70]
	v_mul_f64 v[69:70], v[3:4], v[71:72]
	v_mul_f64 v[69:70], v[13:14], v[69:70]
	v_fma_f64 v[69:70], v[69:70], v[65:66], v[63:64]
	v_mul_f64 v[63:64], v[21:22], v[71:72]
	v_mul_f64 v[75:76], v[33:34], v[63:64]
	ds_read2_b64 v[63:66], v77 offset0:12 offset1:13
	s_waitcnt lgkmcnt(0)
	v_fma_f64 v[63:64], v[75:76], v[63:64], v[69:70]
	v_mul_f64 v[69:70], v[23:24], v[71:72]
	v_mul_f64 v[69:70], v[41:42], v[69:70]
	v_fma_f64 v[69:70], v[69:70], v[65:66], v[63:64]
	v_mul_f64 v[63:64], v[57:58], v[71:72]
	v_mul_f64 v[71:72], v[49:50], v[63:64]
	ds_read2_b64 v[63:66], v77 offset0:14 offset1:15
	s_waitcnt lgkmcnt(0)
	v_fma_f64 v[63:64], v[71:72], v[63:64], v[69:70]
	v_mul_f64 v[69:70], v[31:32], v[73:74]
	v_mul_f64 v[69:70], v[45:46], v[69:70]
	;; [unrolled: 1-line block ×4, first 2 shown]
	v_fma_f64 v[71:72], v[71:72], v[65:66], v[63:64]
	v_mul_f64 v[63:64], v[3:4], v[69:70]
	v_mul_f64 v[75:76], v[13:14], v[63:64]
	ds_read2_b64 v[63:66], v77 offset0:16 offset1:17
	s_waitcnt lgkmcnt(0)
	v_fma_f64 v[63:64], v[75:76], v[63:64], v[71:72]
	v_mul_f64 v[71:72], v[21:22], v[69:70]
	v_mul_f64 v[71:72], v[33:34], v[71:72]
	v_fma_f64 v[71:72], v[71:72], v[65:66], v[63:64]
	v_mul_f64 v[63:64], v[23:24], v[69:70]
	v_mul_f64 v[69:70], v[57:58], v[69:70]
	;; [unrolled: 1-line block ×3, first 2 shown]
	ds_read2_b64 v[63:66], v77 offset0:18 offset1:19
	v_mul_f64 v[69:70], v[49:50], v[69:70]
	s_waitcnt lgkmcnt(0)
	v_fma_f64 v[63:64], v[75:76], v[63:64], v[71:72]
	v_fma_f64 v[69:70], v[69:70], v[65:66], v[63:64]
	v_mul_f64 v[63:64], v[59:60], v[73:74]
	v_mul_f64 v[71:72], v[53:54], v[63:64]
	;; [unrolled: 1-line block ×4, first 2 shown]
	ds_read2_b64 v[63:66], v77 offset0:20 offset1:21
	s_waitcnt lgkmcnt(0)
	v_fma_f64 v[63:64], v[73:74], v[63:64], v[69:70]
	v_mul_f64 v[69:70], v[3:4], v[71:72]
	v_mul_f64 v[69:70], v[13:14], v[69:70]
	v_fma_f64 v[69:70], v[69:70], v[65:66], v[63:64]
	v_mul_f64 v[63:64], v[21:22], v[71:72]
	v_mul_f64 v[73:74], v[33:34], v[63:64]
	ds_read2_b64 v[63:66], v77 offset0:22 offset1:23
	s_waitcnt lgkmcnt(0)
	v_fma_f64 v[63:64], v[73:74], v[63:64], v[69:70]
	v_mul_f64 v[69:70], v[23:24], v[71:72]
	v_mul_f64 v[69:70], v[41:42], v[69:70]
	v_fma_f64 v[63:64], v[69:70], v[65:66], v[63:64]
	v_mul_f64 v[65:66], v[57:58], v[71:72]
	ds_read_b64 v[69:70], v77 offset:192
	v_mul_f64 v[65:66], v[49:50], v[65:66]
	s_waitcnt lgkmcnt(0)
	v_fma_f64 v[63:64], v[65:66], v[69:70], v[63:64]
	s_cbranch_scc1 .LBB1_41
; %bb.42:                               ;   in Loop: Header=BB1_24 Depth=1
	v_add_co_u32 v69, vcc_lo, 0x1000, v61
	v_mov_b32_e32 v65, 0
	v_add_co_ci_u32_e64 v70, null, 0, v62, vcc_lo
	v_mov_b32_e32 v66, 0
	s_mov_b32 s5, 0
	s_mov_b64 s[2:3], 5
	s_mov_b32 s6, 0
	global_store_dwordx2 v[69:70], v[63:64], off
.LBB1_43:                               ;   Parent Loop BB1_24 Depth=1
                                        ; =>  This Inner Loop Header: Depth=2
	s_add_i32 s7, s4, s5
	v_add_nc_u32_e32 v63, s5, v0
	v_mov_b32_e32 v69, s7
	v_mov_b32_e32 v77, s6
	s_add_u32 s2, s2, -1
	s_addc_u32 s3, s3, -1
	ds_read_b64 v[63:64], v63
	ds_read_b64 v[69:70], v69
	s_addk_i32 s6, 0xc8
	s_add_i32 s5, s5, 32
	s_cmp_lg_u64 s[2:3], 0
	s_waitcnt lgkmcnt(0)
	v_mul_f64 v[73:74], v[63:64], v[69:70]
	ds_read2_b64 v[69:72], v77 offset1:1
	v_mul_f64 v[63:64], v[25:26], v[73:74]
	v_mul_f64 v[75:76], v[9:10], v[63:64]
	;; [unrolled: 1-line block ×4, first 2 shown]
	s_waitcnt lgkmcnt(0)
	v_fma_f64 v[63:64], v[69:70], v[63:64], v[65:66]
	v_mul_f64 v[65:66], v[3:4], v[75:76]
	v_mul_f64 v[65:66], v[15:16], v[65:66]
	v_fma_f64 v[69:70], v[71:72], v[65:66], v[63:64]
	v_mul_f64 v[63:64], v[21:22], v[75:76]
	v_mul_f64 v[71:72], v[35:36], v[63:64]
	ds_read2_b64 v[63:66], v77 offset0:2 offset1:3
	s_waitcnt lgkmcnt(0)
	v_fma_f64 v[63:64], v[63:64], v[71:72], v[69:70]
	v_mul_f64 v[69:70], v[23:24], v[75:76]
	v_mul_f64 v[69:70], v[43:44], v[69:70]
	v_fma_f64 v[69:70], v[65:66], v[69:70], v[63:64]
	v_mul_f64 v[63:64], v[57:58], v[75:76]
	v_mul_f64 v[71:72], v[51:52], v[63:64]
	ds_read2_b64 v[63:66], v77 offset0:4 offset1:5
	s_waitcnt lgkmcnt(0)
	v_fma_f64 v[63:64], v[71:72], v[63:64], v[69:70]
	v_mul_f64 v[69:70], v[27:28], v[73:74]
	v_mul_f64 v[69:70], v[17:18], v[69:70]
	;; [unrolled: 1-line block ×4, first 2 shown]
	v_fma_f64 v[71:72], v[71:72], v[65:66], v[63:64]
	v_mul_f64 v[63:64], v[3:4], v[69:70]
	v_mul_f64 v[75:76], v[15:16], v[63:64]
	ds_read2_b64 v[63:66], v77 offset0:6 offset1:7
	s_waitcnt lgkmcnt(0)
	v_fma_f64 v[63:64], v[75:76], v[63:64], v[71:72]
	v_mul_f64 v[71:72], v[21:22], v[69:70]
	v_mul_f64 v[71:72], v[35:36], v[71:72]
	v_fma_f64 v[71:72], v[71:72], v[65:66], v[63:64]
	v_mul_f64 v[63:64], v[23:24], v[69:70]
	v_mul_f64 v[69:70], v[57:58], v[69:70]
	;; [unrolled: 1-line block ×3, first 2 shown]
	ds_read2_b64 v[63:66], v77 offset0:8 offset1:9
	v_mul_f64 v[69:70], v[51:52], v[69:70]
	s_waitcnt lgkmcnt(0)
	v_fma_f64 v[63:64], v[75:76], v[63:64], v[71:72]
	v_fma_f64 v[69:70], v[69:70], v[65:66], v[63:64]
	v_mul_f64 v[63:64], v[29:30], v[73:74]
	v_mul_f64 v[71:72], v[37:38], v[63:64]
	;; [unrolled: 1-line block ×4, first 2 shown]
	ds_read2_b64 v[63:66], v77 offset0:10 offset1:11
	s_waitcnt lgkmcnt(0)
	v_fma_f64 v[63:64], v[75:76], v[63:64], v[69:70]
	v_mul_f64 v[69:70], v[3:4], v[71:72]
	v_mul_f64 v[69:70], v[15:16], v[69:70]
	v_fma_f64 v[69:70], v[69:70], v[65:66], v[63:64]
	v_mul_f64 v[63:64], v[21:22], v[71:72]
	v_mul_f64 v[75:76], v[35:36], v[63:64]
	ds_read2_b64 v[63:66], v77 offset0:12 offset1:13
	s_waitcnt lgkmcnt(0)
	v_fma_f64 v[63:64], v[75:76], v[63:64], v[69:70]
	v_mul_f64 v[69:70], v[23:24], v[71:72]
	v_mul_f64 v[69:70], v[43:44], v[69:70]
	v_fma_f64 v[69:70], v[69:70], v[65:66], v[63:64]
	v_mul_f64 v[63:64], v[57:58], v[71:72]
	v_mul_f64 v[71:72], v[51:52], v[63:64]
	ds_read2_b64 v[63:66], v77 offset0:14 offset1:15
	s_waitcnt lgkmcnt(0)
	v_fma_f64 v[63:64], v[71:72], v[63:64], v[69:70]
	v_mul_f64 v[69:70], v[31:32], v[73:74]
	v_mul_f64 v[69:70], v[45:46], v[69:70]
	;; [unrolled: 1-line block ×4, first 2 shown]
	v_fma_f64 v[71:72], v[71:72], v[65:66], v[63:64]
	v_mul_f64 v[63:64], v[3:4], v[69:70]
	v_mul_f64 v[75:76], v[15:16], v[63:64]
	ds_read2_b64 v[63:66], v77 offset0:16 offset1:17
	s_waitcnt lgkmcnt(0)
	v_fma_f64 v[63:64], v[75:76], v[63:64], v[71:72]
	v_mul_f64 v[71:72], v[21:22], v[69:70]
	v_mul_f64 v[71:72], v[35:36], v[71:72]
	v_fma_f64 v[71:72], v[71:72], v[65:66], v[63:64]
	v_mul_f64 v[63:64], v[23:24], v[69:70]
	v_mul_f64 v[69:70], v[57:58], v[69:70]
	;; [unrolled: 1-line block ×3, first 2 shown]
	ds_read2_b64 v[63:66], v77 offset0:18 offset1:19
	v_mul_f64 v[69:70], v[51:52], v[69:70]
	s_waitcnt lgkmcnt(0)
	v_fma_f64 v[63:64], v[75:76], v[63:64], v[71:72]
	v_fma_f64 v[69:70], v[69:70], v[65:66], v[63:64]
	v_mul_f64 v[63:64], v[59:60], v[73:74]
	v_mul_f64 v[71:72], v[53:54], v[63:64]
	;; [unrolled: 1-line block ×4, first 2 shown]
	ds_read2_b64 v[63:66], v77 offset0:20 offset1:21
	s_waitcnt lgkmcnt(0)
	v_fma_f64 v[63:64], v[73:74], v[63:64], v[69:70]
	v_mul_f64 v[69:70], v[3:4], v[71:72]
	v_mul_f64 v[69:70], v[15:16], v[69:70]
	v_fma_f64 v[69:70], v[69:70], v[65:66], v[63:64]
	v_mul_f64 v[63:64], v[21:22], v[71:72]
	v_mul_f64 v[73:74], v[35:36], v[63:64]
	ds_read2_b64 v[63:66], v77 offset0:22 offset1:23
	s_waitcnt lgkmcnt(0)
	v_fma_f64 v[63:64], v[73:74], v[63:64], v[69:70]
	v_mul_f64 v[69:70], v[23:24], v[71:72]
	v_mul_f64 v[69:70], v[43:44], v[69:70]
	v_fma_f64 v[63:64], v[69:70], v[65:66], v[63:64]
	v_mul_f64 v[65:66], v[57:58], v[71:72]
	ds_read_b64 v[69:70], v77 offset:192
	v_mul_f64 v[65:66], v[51:52], v[65:66]
	s_waitcnt lgkmcnt(0)
	v_fma_f64 v[65:66], v[65:66], v[69:70], v[63:64]
	s_cbranch_scc1 .LBB1_43
; %bb.44:                               ;   in Loop: Header=BB1_24 Depth=1
	v_add_co_u32 v69, vcc_lo, 0x3000, v61
	v_mov_b32_e32 v63, 0
	v_add_co_ci_u32_e64 v70, null, 0, v62, vcc_lo
	v_mov_b32_e32 v64, 0
	s_mov_b32 s5, 0
	s_mov_b64 s[2:3], 5
	s_mov_b32 s6, 0
	global_store_dwordx2 v[69:70], v[65:66], off
.LBB1_45:                               ;   Parent Loop BB1_24 Depth=1
                                        ; =>  This Inner Loop Header: Depth=2
	s_add_i32 s7, s4, s5
	v_add_nc_u32_e32 v65, s5, v0
	v_mov_b32_e32 v69, s7
	v_mov_b32_e32 v77, s6
	s_add_u32 s2, s2, -1
	s_addc_u32 s3, s3, -1
	ds_read_b64 v[65:66], v65
	ds_read_b64 v[69:70], v69
	s_addk_i32 s6, 0xc8
	s_add_i32 s5, s5, 32
	s_cmp_lg_u64 s[2:3], 0
	s_waitcnt lgkmcnt(0)
	v_mul_f64 v[73:74], v[65:66], v[69:70]
	ds_read2_b64 v[69:72], v77 offset1:1
	v_mul_f64 v[65:66], v[25:26], v[73:74]
	v_mul_f64 v[75:76], v[9:10], v[65:66]
	;; [unrolled: 1-line block ×4, first 2 shown]
	s_waitcnt lgkmcnt(0)
	v_fma_f64 v[63:64], v[69:70], v[65:66], v[63:64]
	v_mul_f64 v[65:66], v[3:4], v[75:76]
	v_mul_f64 v[65:66], v[17:18], v[65:66]
	v_fma_f64 v[69:70], v[71:72], v[65:66], v[63:64]
	v_mul_f64 v[63:64], v[21:22], v[75:76]
	v_mul_f64 v[71:72], v[37:38], v[63:64]
	ds_read2_b64 v[63:66], v77 offset0:2 offset1:3
	s_waitcnt lgkmcnt(0)
	v_fma_f64 v[63:64], v[63:64], v[71:72], v[69:70]
	v_mul_f64 v[69:70], v[23:24], v[75:76]
	v_mul_f64 v[69:70], v[45:46], v[69:70]
	v_fma_f64 v[69:70], v[65:66], v[69:70], v[63:64]
	v_mul_f64 v[63:64], v[57:58], v[75:76]
	v_mul_f64 v[71:72], v[53:54], v[63:64]
	ds_read2_b64 v[63:66], v77 offset0:4 offset1:5
	s_waitcnt lgkmcnt(0)
	v_fma_f64 v[63:64], v[71:72], v[63:64], v[69:70]
	v_mul_f64 v[69:70], v[27:28], v[73:74]
	v_mul_f64 v[69:70], v[17:18], v[69:70]
	;; [unrolled: 1-line block ×4, first 2 shown]
	v_fma_f64 v[71:72], v[71:72], v[65:66], v[63:64]
	v_mul_f64 v[63:64], v[3:4], v[69:70]
	v_mul_f64 v[75:76], v[17:18], v[63:64]
	ds_read2_b64 v[63:66], v77 offset0:6 offset1:7
	s_waitcnt lgkmcnt(0)
	v_fma_f64 v[63:64], v[75:76], v[63:64], v[71:72]
	v_mul_f64 v[71:72], v[21:22], v[69:70]
	v_mul_f64 v[71:72], v[37:38], v[71:72]
	v_fma_f64 v[71:72], v[71:72], v[65:66], v[63:64]
	v_mul_f64 v[63:64], v[23:24], v[69:70]
	v_mul_f64 v[69:70], v[57:58], v[69:70]
	;; [unrolled: 1-line block ×3, first 2 shown]
	ds_read2_b64 v[63:66], v77 offset0:8 offset1:9
	v_mul_f64 v[69:70], v[53:54], v[69:70]
	s_waitcnt lgkmcnt(0)
	v_fma_f64 v[63:64], v[75:76], v[63:64], v[71:72]
	v_fma_f64 v[69:70], v[69:70], v[65:66], v[63:64]
	v_mul_f64 v[63:64], v[29:30], v[73:74]
	v_mul_f64 v[71:72], v[37:38], v[63:64]
	;; [unrolled: 1-line block ×4, first 2 shown]
	ds_read2_b64 v[63:66], v77 offset0:10 offset1:11
	s_waitcnt lgkmcnt(0)
	v_fma_f64 v[63:64], v[75:76], v[63:64], v[69:70]
	v_mul_f64 v[69:70], v[3:4], v[71:72]
	v_mul_f64 v[69:70], v[17:18], v[69:70]
	v_fma_f64 v[69:70], v[69:70], v[65:66], v[63:64]
	v_mul_f64 v[63:64], v[21:22], v[71:72]
	v_mul_f64 v[75:76], v[37:38], v[63:64]
	ds_read2_b64 v[63:66], v77 offset0:12 offset1:13
	s_waitcnt lgkmcnt(0)
	v_fma_f64 v[63:64], v[75:76], v[63:64], v[69:70]
	v_mul_f64 v[69:70], v[23:24], v[71:72]
	v_mul_f64 v[69:70], v[45:46], v[69:70]
	v_fma_f64 v[69:70], v[69:70], v[65:66], v[63:64]
	v_mul_f64 v[63:64], v[57:58], v[71:72]
	v_mul_f64 v[71:72], v[53:54], v[63:64]
	ds_read2_b64 v[63:66], v77 offset0:14 offset1:15
	s_waitcnt lgkmcnt(0)
	v_fma_f64 v[63:64], v[71:72], v[63:64], v[69:70]
	v_mul_f64 v[69:70], v[31:32], v[73:74]
	v_mul_f64 v[69:70], v[45:46], v[69:70]
	;; [unrolled: 1-line block ×4, first 2 shown]
	v_fma_f64 v[71:72], v[71:72], v[65:66], v[63:64]
	v_mul_f64 v[63:64], v[3:4], v[69:70]
	v_mul_f64 v[75:76], v[17:18], v[63:64]
	ds_read2_b64 v[63:66], v77 offset0:16 offset1:17
	s_waitcnt lgkmcnt(0)
	v_fma_f64 v[63:64], v[75:76], v[63:64], v[71:72]
	v_mul_f64 v[71:72], v[21:22], v[69:70]
	v_mul_f64 v[71:72], v[37:38], v[71:72]
	v_fma_f64 v[71:72], v[71:72], v[65:66], v[63:64]
	v_mul_f64 v[63:64], v[23:24], v[69:70]
	v_mul_f64 v[69:70], v[57:58], v[69:70]
	;; [unrolled: 1-line block ×3, first 2 shown]
	ds_read2_b64 v[63:66], v77 offset0:18 offset1:19
	v_mul_f64 v[69:70], v[53:54], v[69:70]
	s_waitcnt lgkmcnt(0)
	v_fma_f64 v[63:64], v[75:76], v[63:64], v[71:72]
	v_fma_f64 v[69:70], v[69:70], v[65:66], v[63:64]
	v_mul_f64 v[63:64], v[59:60], v[73:74]
	v_mul_f64 v[71:72], v[53:54], v[63:64]
	;; [unrolled: 1-line block ×4, first 2 shown]
	ds_read2_b64 v[63:66], v77 offset0:20 offset1:21
	s_waitcnt lgkmcnt(0)
	v_fma_f64 v[63:64], v[73:74], v[63:64], v[69:70]
	v_mul_f64 v[69:70], v[3:4], v[71:72]
	v_mul_f64 v[69:70], v[17:18], v[69:70]
	v_fma_f64 v[69:70], v[69:70], v[65:66], v[63:64]
	v_mul_f64 v[63:64], v[21:22], v[71:72]
	v_mul_f64 v[73:74], v[37:38], v[63:64]
	ds_read2_b64 v[63:66], v77 offset0:22 offset1:23
	s_waitcnt lgkmcnt(0)
	v_fma_f64 v[63:64], v[73:74], v[63:64], v[69:70]
	v_mul_f64 v[69:70], v[23:24], v[71:72]
	v_mul_f64 v[69:70], v[45:46], v[69:70]
	v_fma_f64 v[63:64], v[69:70], v[65:66], v[63:64]
	v_mul_f64 v[65:66], v[57:58], v[71:72]
	ds_read_b64 v[69:70], v77 offset:192
	v_mul_f64 v[65:66], v[53:54], v[65:66]
	s_waitcnt lgkmcnt(0)
	v_fma_f64 v[63:64], v[65:66], v[69:70], v[63:64]
	s_cbranch_scc1 .LBB1_45
; %bb.46:                               ;   in Loop: Header=BB1_24 Depth=1
	v_add_co_u32 v69, vcc_lo, 0x5000, v61
	v_mov_b32_e32 v65, 0
	v_add_co_ci_u32_e64 v70, null, 0, v62, vcc_lo
	v_mov_b32_e32 v66, 0
	s_mov_b32 s5, 0
	s_mov_b64 s[2:3], 5
	s_mov_b32 s6, 0
	global_store_dwordx2 v[69:70], v[63:64], off
.LBB1_47:                               ;   Parent Loop BB1_24 Depth=1
                                        ; =>  This Inner Loop Header: Depth=2
	s_add_i32 s7, s4, s5
	v_add_nc_u32_e32 v63, s5, v0
	v_mov_b32_e32 v69, s7
	v_mov_b32_e32 v77, s6
	s_add_u32 s2, s2, -1
	s_addc_u32 s3, s3, -1
	ds_read_b64 v[63:64], v63
	ds_read_b64 v[69:70], v69
	s_addk_i32 s6, 0xc8
	s_add_i32 s5, s5, 32
	s_cmp_lg_u64 s[2:3], 0
	s_waitcnt lgkmcnt(0)
	v_mul_f64 v[73:74], v[63:64], v[69:70]
	ds_read2_b64 v[69:72], v77 offset1:1
	v_mul_f64 v[63:64], v[25:26], v[73:74]
	v_mul_f64 v[75:76], v[9:10], v[63:64]
	;; [unrolled: 1-line block ×4, first 2 shown]
	s_waitcnt lgkmcnt(0)
	v_fma_f64 v[63:64], v[69:70], v[63:64], v[65:66]
	v_mul_f64 v[65:66], v[3:4], v[75:76]
	v_mul_f64 v[65:66], v[19:20], v[65:66]
	v_fma_f64 v[69:70], v[71:72], v[65:66], v[63:64]
	v_mul_f64 v[63:64], v[21:22], v[75:76]
	v_mul_f64 v[71:72], v[39:40], v[63:64]
	ds_read2_b64 v[63:66], v77 offset0:2 offset1:3
	s_waitcnt lgkmcnt(0)
	v_fma_f64 v[63:64], v[63:64], v[71:72], v[69:70]
	v_mul_f64 v[69:70], v[23:24], v[75:76]
	v_mul_f64 v[69:70], v[47:48], v[69:70]
	v_fma_f64 v[69:70], v[65:66], v[69:70], v[63:64]
	v_mul_f64 v[63:64], v[57:58], v[75:76]
	v_mul_f64 v[71:72], v[55:56], v[63:64]
	ds_read2_b64 v[63:66], v77 offset0:4 offset1:5
	s_waitcnt lgkmcnt(0)
	v_fma_f64 v[63:64], v[71:72], v[63:64], v[69:70]
	v_mul_f64 v[69:70], v[27:28], v[73:74]
	v_mul_f64 v[69:70], v[17:18], v[69:70]
	;; [unrolled: 1-line block ×4, first 2 shown]
	v_fma_f64 v[71:72], v[71:72], v[65:66], v[63:64]
	v_mul_f64 v[63:64], v[3:4], v[69:70]
	v_mul_f64 v[75:76], v[19:20], v[63:64]
	ds_read2_b64 v[63:66], v77 offset0:6 offset1:7
	s_waitcnt lgkmcnt(0)
	v_fma_f64 v[63:64], v[75:76], v[63:64], v[71:72]
	v_mul_f64 v[71:72], v[21:22], v[69:70]
	v_mul_f64 v[71:72], v[39:40], v[71:72]
	v_fma_f64 v[71:72], v[71:72], v[65:66], v[63:64]
	v_mul_f64 v[63:64], v[23:24], v[69:70]
	v_mul_f64 v[69:70], v[57:58], v[69:70]
	;; [unrolled: 1-line block ×3, first 2 shown]
	ds_read2_b64 v[63:66], v77 offset0:8 offset1:9
	v_mul_f64 v[69:70], v[55:56], v[69:70]
	s_waitcnt lgkmcnt(0)
	v_fma_f64 v[63:64], v[75:76], v[63:64], v[71:72]
	v_fma_f64 v[69:70], v[69:70], v[65:66], v[63:64]
	v_mul_f64 v[63:64], v[29:30], v[73:74]
	v_mul_f64 v[71:72], v[37:38], v[63:64]
	;; [unrolled: 1-line block ×4, first 2 shown]
	ds_read2_b64 v[63:66], v77 offset0:10 offset1:11
	s_waitcnt lgkmcnt(0)
	v_fma_f64 v[63:64], v[75:76], v[63:64], v[69:70]
	v_mul_f64 v[69:70], v[3:4], v[71:72]
	v_mul_f64 v[69:70], v[19:20], v[69:70]
	v_fma_f64 v[69:70], v[69:70], v[65:66], v[63:64]
	v_mul_f64 v[63:64], v[21:22], v[71:72]
	v_mul_f64 v[75:76], v[39:40], v[63:64]
	ds_read2_b64 v[63:66], v77 offset0:12 offset1:13
	s_waitcnt lgkmcnt(0)
	v_fma_f64 v[63:64], v[75:76], v[63:64], v[69:70]
	v_mul_f64 v[69:70], v[23:24], v[71:72]
	v_mul_f64 v[69:70], v[47:48], v[69:70]
	v_fma_f64 v[69:70], v[69:70], v[65:66], v[63:64]
	v_mul_f64 v[63:64], v[57:58], v[71:72]
	v_mul_f64 v[71:72], v[55:56], v[63:64]
	ds_read2_b64 v[63:66], v77 offset0:14 offset1:15
	s_waitcnt lgkmcnt(0)
	v_fma_f64 v[63:64], v[71:72], v[63:64], v[69:70]
	v_mul_f64 v[69:70], v[31:32], v[73:74]
	v_mul_f64 v[69:70], v[45:46], v[69:70]
	;; [unrolled: 1-line block ×4, first 2 shown]
	v_fma_f64 v[71:72], v[71:72], v[65:66], v[63:64]
	v_mul_f64 v[63:64], v[3:4], v[69:70]
	v_mul_f64 v[75:76], v[19:20], v[63:64]
	ds_read2_b64 v[63:66], v77 offset0:16 offset1:17
	s_waitcnt lgkmcnt(0)
	v_fma_f64 v[63:64], v[75:76], v[63:64], v[71:72]
	v_mul_f64 v[71:72], v[21:22], v[69:70]
	v_mul_f64 v[71:72], v[39:40], v[71:72]
	v_fma_f64 v[71:72], v[71:72], v[65:66], v[63:64]
	v_mul_f64 v[63:64], v[23:24], v[69:70]
	v_mul_f64 v[69:70], v[57:58], v[69:70]
	;; [unrolled: 1-line block ×3, first 2 shown]
	ds_read2_b64 v[63:66], v77 offset0:18 offset1:19
	v_mul_f64 v[69:70], v[55:56], v[69:70]
	s_waitcnt lgkmcnt(0)
	v_fma_f64 v[63:64], v[75:76], v[63:64], v[71:72]
	v_fma_f64 v[69:70], v[69:70], v[65:66], v[63:64]
	v_mul_f64 v[63:64], v[59:60], v[73:74]
	v_mul_f64 v[71:72], v[53:54], v[63:64]
	;; [unrolled: 1-line block ×4, first 2 shown]
	ds_read2_b64 v[63:66], v77 offset0:20 offset1:21
	s_waitcnt lgkmcnt(0)
	v_fma_f64 v[63:64], v[73:74], v[63:64], v[69:70]
	v_mul_f64 v[69:70], v[3:4], v[71:72]
	v_mul_f64 v[69:70], v[19:20], v[69:70]
	v_fma_f64 v[69:70], v[69:70], v[65:66], v[63:64]
	v_mul_f64 v[63:64], v[21:22], v[71:72]
	v_mul_f64 v[73:74], v[39:40], v[63:64]
	ds_read2_b64 v[63:66], v77 offset0:22 offset1:23
	s_waitcnt lgkmcnt(0)
	v_fma_f64 v[63:64], v[73:74], v[63:64], v[69:70]
	v_mul_f64 v[69:70], v[23:24], v[71:72]
	v_mul_f64 v[69:70], v[47:48], v[69:70]
	v_fma_f64 v[63:64], v[69:70], v[65:66], v[63:64]
	v_mul_f64 v[65:66], v[57:58], v[71:72]
	ds_read_b64 v[69:70], v77 offset:192
	v_mul_f64 v[65:66], v[55:56], v[65:66]
	s_waitcnt lgkmcnt(0)
	v_fma_f64 v[65:66], v[65:66], v[69:70], v[63:64]
	s_cbranch_scc1 .LBB1_47
; %bb.48:                               ;   in Loop: Header=BB1_24 Depth=1
	v_add_co_u32 v69, vcc_lo, 0x7000, v61
	v_mov_b32_e32 v63, 0
	v_add_co_ci_u32_e64 v70, null, 0, v62, vcc_lo
	v_mov_b32_e32 v64, 0
	s_mov_b32 s5, 0
	s_mov_b64 s[2:3], 5
	s_mov_b32 s6, 0
	global_store_dwordx2 v[69:70], v[65:66], off
.LBB1_49:                               ;   Parent Loop BB1_24 Depth=1
                                        ; =>  This Inner Loop Header: Depth=2
	s_add_i32 s7, s4, s5
	v_add_nc_u32_e32 v65, s5, v0
	v_mov_b32_e32 v69, s7
	v_mov_b32_e32 v77, s6
	s_add_u32 s2, s2, -1
	s_addc_u32 s3, s3, -1
	ds_read_b64 v[65:66], v65
	ds_read_b64 v[69:70], v69
	s_addk_i32 s6, 0xc8
	s_add_i32 s5, s5, 32
	s_cmp_lg_u64 s[2:3], 0
	s_waitcnt lgkmcnt(0)
	v_mul_f64 v[73:74], v[65:66], v[69:70]
	ds_read2_b64 v[69:72], v77 offset1:1
	v_mul_f64 v[65:66], v[25:26], v[73:74]
	v_mul_f64 v[75:76], v[11:12], v[65:66]
	v_mul_f64 v[65:66], v[1:2], v[75:76]
	v_mul_f64 v[65:66], v[5:6], v[65:66]
	s_waitcnt lgkmcnt(0)
	v_fma_f64 v[63:64], v[69:70], v[65:66], v[63:64]
	v_mul_f64 v[65:66], v[3:4], v[75:76]
	v_mul_f64 v[65:66], v[13:14], v[65:66]
	v_fma_f64 v[69:70], v[71:72], v[65:66], v[63:64]
	v_mul_f64 v[63:64], v[21:22], v[75:76]
	v_mul_f64 v[71:72], v[33:34], v[63:64]
	ds_read2_b64 v[63:66], v77 offset0:2 offset1:3
	s_waitcnt lgkmcnt(0)
	v_fma_f64 v[63:64], v[63:64], v[71:72], v[69:70]
	v_mul_f64 v[69:70], v[23:24], v[75:76]
	v_mul_f64 v[69:70], v[41:42], v[69:70]
	v_fma_f64 v[69:70], v[65:66], v[69:70], v[63:64]
	v_mul_f64 v[63:64], v[57:58], v[75:76]
	v_mul_f64 v[71:72], v[49:50], v[63:64]
	ds_read2_b64 v[63:66], v77 offset0:4 offset1:5
	s_waitcnt lgkmcnt(0)
	v_fma_f64 v[63:64], v[71:72], v[63:64], v[69:70]
	v_mul_f64 v[69:70], v[27:28], v[73:74]
	v_mul_f64 v[69:70], v[19:20], v[69:70]
	v_mul_f64 v[71:72], v[1:2], v[69:70]
	v_mul_f64 v[71:72], v[5:6], v[71:72]
	v_fma_f64 v[71:72], v[71:72], v[65:66], v[63:64]
	v_mul_f64 v[63:64], v[3:4], v[69:70]
	v_mul_f64 v[75:76], v[13:14], v[63:64]
	ds_read2_b64 v[63:66], v77 offset0:6 offset1:7
	s_waitcnt lgkmcnt(0)
	v_fma_f64 v[63:64], v[75:76], v[63:64], v[71:72]
	v_mul_f64 v[71:72], v[21:22], v[69:70]
	v_mul_f64 v[71:72], v[33:34], v[71:72]
	v_fma_f64 v[71:72], v[71:72], v[65:66], v[63:64]
	v_mul_f64 v[63:64], v[23:24], v[69:70]
	v_mul_f64 v[69:70], v[57:58], v[69:70]
	;; [unrolled: 1-line block ×3, first 2 shown]
	ds_read2_b64 v[63:66], v77 offset0:8 offset1:9
	v_mul_f64 v[69:70], v[49:50], v[69:70]
	s_waitcnt lgkmcnt(0)
	v_fma_f64 v[63:64], v[75:76], v[63:64], v[71:72]
	v_fma_f64 v[69:70], v[69:70], v[65:66], v[63:64]
	v_mul_f64 v[63:64], v[29:30], v[73:74]
	v_mul_f64 v[71:72], v[39:40], v[63:64]
	;; [unrolled: 1-line block ×4, first 2 shown]
	ds_read2_b64 v[63:66], v77 offset0:10 offset1:11
	s_waitcnt lgkmcnt(0)
	v_fma_f64 v[63:64], v[75:76], v[63:64], v[69:70]
	v_mul_f64 v[69:70], v[3:4], v[71:72]
	v_mul_f64 v[69:70], v[13:14], v[69:70]
	v_fma_f64 v[69:70], v[69:70], v[65:66], v[63:64]
	v_mul_f64 v[63:64], v[21:22], v[71:72]
	v_mul_f64 v[75:76], v[33:34], v[63:64]
	ds_read2_b64 v[63:66], v77 offset0:12 offset1:13
	s_waitcnt lgkmcnt(0)
	v_fma_f64 v[63:64], v[75:76], v[63:64], v[69:70]
	v_mul_f64 v[69:70], v[23:24], v[71:72]
	v_mul_f64 v[69:70], v[41:42], v[69:70]
	v_fma_f64 v[69:70], v[69:70], v[65:66], v[63:64]
	v_mul_f64 v[63:64], v[57:58], v[71:72]
	v_mul_f64 v[71:72], v[49:50], v[63:64]
	ds_read2_b64 v[63:66], v77 offset0:14 offset1:15
	s_waitcnt lgkmcnt(0)
	v_fma_f64 v[63:64], v[71:72], v[63:64], v[69:70]
	v_mul_f64 v[69:70], v[31:32], v[73:74]
	v_mul_f64 v[69:70], v[47:48], v[69:70]
	;; [unrolled: 1-line block ×4, first 2 shown]
	v_fma_f64 v[71:72], v[71:72], v[65:66], v[63:64]
	v_mul_f64 v[63:64], v[3:4], v[69:70]
	v_mul_f64 v[75:76], v[13:14], v[63:64]
	ds_read2_b64 v[63:66], v77 offset0:16 offset1:17
	s_waitcnt lgkmcnt(0)
	v_fma_f64 v[63:64], v[75:76], v[63:64], v[71:72]
	v_mul_f64 v[71:72], v[21:22], v[69:70]
	v_mul_f64 v[71:72], v[33:34], v[71:72]
	v_fma_f64 v[71:72], v[71:72], v[65:66], v[63:64]
	v_mul_f64 v[63:64], v[23:24], v[69:70]
	v_mul_f64 v[69:70], v[57:58], v[69:70]
	;; [unrolled: 1-line block ×3, first 2 shown]
	ds_read2_b64 v[63:66], v77 offset0:18 offset1:19
	v_mul_f64 v[69:70], v[49:50], v[69:70]
	s_waitcnt lgkmcnt(0)
	v_fma_f64 v[63:64], v[75:76], v[63:64], v[71:72]
	v_fma_f64 v[69:70], v[69:70], v[65:66], v[63:64]
	v_mul_f64 v[63:64], v[59:60], v[73:74]
	v_mul_f64 v[71:72], v[55:56], v[63:64]
	;; [unrolled: 1-line block ×4, first 2 shown]
	ds_read2_b64 v[63:66], v77 offset0:20 offset1:21
	s_waitcnt lgkmcnt(0)
	v_fma_f64 v[63:64], v[73:74], v[63:64], v[69:70]
	v_mul_f64 v[69:70], v[3:4], v[71:72]
	v_mul_f64 v[69:70], v[13:14], v[69:70]
	v_fma_f64 v[69:70], v[69:70], v[65:66], v[63:64]
	v_mul_f64 v[63:64], v[21:22], v[71:72]
	v_mul_f64 v[73:74], v[33:34], v[63:64]
	ds_read2_b64 v[63:66], v77 offset0:22 offset1:23
	s_waitcnt lgkmcnt(0)
	v_fma_f64 v[63:64], v[73:74], v[63:64], v[69:70]
	v_mul_f64 v[69:70], v[23:24], v[71:72]
	v_mul_f64 v[69:70], v[41:42], v[69:70]
	v_fma_f64 v[63:64], v[69:70], v[65:66], v[63:64]
	v_mul_f64 v[65:66], v[57:58], v[71:72]
	ds_read_b64 v[69:70], v77 offset:192
	v_mul_f64 v[65:66], v[49:50], v[65:66]
	s_waitcnt lgkmcnt(0)
	v_fma_f64 v[63:64], v[65:66], v[69:70], v[63:64]
	s_cbranch_scc1 .LBB1_49
; %bb.50:                               ;   in Loop: Header=BB1_24 Depth=1
	v_add_co_u32 v69, vcc_lo, 0x1800, v61
	v_mov_b32_e32 v65, 0
	v_add_co_ci_u32_e64 v70, null, 0, v62, vcc_lo
	v_mov_b32_e32 v66, 0
	s_mov_b32 s5, 0
	s_mov_b64 s[2:3], 5
	s_mov_b32 s6, 0
	global_store_dwordx2 v[69:70], v[63:64], off
.LBB1_51:                               ;   Parent Loop BB1_24 Depth=1
                                        ; =>  This Inner Loop Header: Depth=2
	s_add_i32 s7, s4, s5
	v_add_nc_u32_e32 v63, s5, v0
	v_mov_b32_e32 v69, s7
	v_mov_b32_e32 v77, s6
	s_add_u32 s2, s2, -1
	s_addc_u32 s3, s3, -1
	ds_read_b64 v[63:64], v63
	ds_read_b64 v[69:70], v69
	s_addk_i32 s6, 0xc8
	s_add_i32 s5, s5, 32
	s_cmp_lg_u64 s[2:3], 0
	s_waitcnt lgkmcnt(0)
	v_mul_f64 v[73:74], v[63:64], v[69:70]
	ds_read2_b64 v[69:72], v77 offset1:1
	v_mul_f64 v[63:64], v[25:26], v[73:74]
	v_mul_f64 v[75:76], v[11:12], v[63:64]
	;; [unrolled: 1-line block ×4, first 2 shown]
	s_waitcnt lgkmcnt(0)
	v_fma_f64 v[63:64], v[69:70], v[63:64], v[65:66]
	v_mul_f64 v[65:66], v[3:4], v[75:76]
	v_mul_f64 v[65:66], v[15:16], v[65:66]
	v_fma_f64 v[69:70], v[71:72], v[65:66], v[63:64]
	v_mul_f64 v[63:64], v[21:22], v[75:76]
	v_mul_f64 v[71:72], v[35:36], v[63:64]
	ds_read2_b64 v[63:66], v77 offset0:2 offset1:3
	s_waitcnt lgkmcnt(0)
	v_fma_f64 v[63:64], v[63:64], v[71:72], v[69:70]
	v_mul_f64 v[69:70], v[23:24], v[75:76]
	v_mul_f64 v[69:70], v[43:44], v[69:70]
	v_fma_f64 v[69:70], v[65:66], v[69:70], v[63:64]
	v_mul_f64 v[63:64], v[57:58], v[75:76]
	v_mul_f64 v[71:72], v[51:52], v[63:64]
	ds_read2_b64 v[63:66], v77 offset0:4 offset1:5
	s_waitcnt lgkmcnt(0)
	v_fma_f64 v[63:64], v[71:72], v[63:64], v[69:70]
	v_mul_f64 v[69:70], v[27:28], v[73:74]
	v_mul_f64 v[69:70], v[19:20], v[69:70]
	;; [unrolled: 1-line block ×4, first 2 shown]
	v_fma_f64 v[71:72], v[71:72], v[65:66], v[63:64]
	v_mul_f64 v[63:64], v[3:4], v[69:70]
	v_mul_f64 v[75:76], v[15:16], v[63:64]
	ds_read2_b64 v[63:66], v77 offset0:6 offset1:7
	s_waitcnt lgkmcnt(0)
	v_fma_f64 v[63:64], v[75:76], v[63:64], v[71:72]
	v_mul_f64 v[71:72], v[21:22], v[69:70]
	v_mul_f64 v[71:72], v[35:36], v[71:72]
	v_fma_f64 v[71:72], v[71:72], v[65:66], v[63:64]
	v_mul_f64 v[63:64], v[23:24], v[69:70]
	v_mul_f64 v[69:70], v[57:58], v[69:70]
	;; [unrolled: 1-line block ×3, first 2 shown]
	ds_read2_b64 v[63:66], v77 offset0:8 offset1:9
	v_mul_f64 v[69:70], v[51:52], v[69:70]
	s_waitcnt lgkmcnt(0)
	v_fma_f64 v[63:64], v[75:76], v[63:64], v[71:72]
	v_fma_f64 v[69:70], v[69:70], v[65:66], v[63:64]
	v_mul_f64 v[63:64], v[29:30], v[73:74]
	v_mul_f64 v[71:72], v[39:40], v[63:64]
	;; [unrolled: 1-line block ×4, first 2 shown]
	ds_read2_b64 v[63:66], v77 offset0:10 offset1:11
	s_waitcnt lgkmcnt(0)
	v_fma_f64 v[63:64], v[75:76], v[63:64], v[69:70]
	v_mul_f64 v[69:70], v[3:4], v[71:72]
	v_mul_f64 v[69:70], v[15:16], v[69:70]
	v_fma_f64 v[69:70], v[69:70], v[65:66], v[63:64]
	v_mul_f64 v[63:64], v[21:22], v[71:72]
	v_mul_f64 v[75:76], v[35:36], v[63:64]
	ds_read2_b64 v[63:66], v77 offset0:12 offset1:13
	s_waitcnt lgkmcnt(0)
	v_fma_f64 v[63:64], v[75:76], v[63:64], v[69:70]
	v_mul_f64 v[69:70], v[23:24], v[71:72]
	v_mul_f64 v[69:70], v[43:44], v[69:70]
	v_fma_f64 v[69:70], v[69:70], v[65:66], v[63:64]
	v_mul_f64 v[63:64], v[57:58], v[71:72]
	v_mul_f64 v[71:72], v[51:52], v[63:64]
	ds_read2_b64 v[63:66], v77 offset0:14 offset1:15
	s_waitcnt lgkmcnt(0)
	v_fma_f64 v[63:64], v[71:72], v[63:64], v[69:70]
	v_mul_f64 v[69:70], v[31:32], v[73:74]
	v_mul_f64 v[69:70], v[47:48], v[69:70]
	;; [unrolled: 1-line block ×4, first 2 shown]
	v_fma_f64 v[71:72], v[71:72], v[65:66], v[63:64]
	v_mul_f64 v[63:64], v[3:4], v[69:70]
	v_mul_f64 v[75:76], v[15:16], v[63:64]
	ds_read2_b64 v[63:66], v77 offset0:16 offset1:17
	s_waitcnt lgkmcnt(0)
	v_fma_f64 v[63:64], v[75:76], v[63:64], v[71:72]
	v_mul_f64 v[71:72], v[21:22], v[69:70]
	v_mul_f64 v[71:72], v[35:36], v[71:72]
	v_fma_f64 v[71:72], v[71:72], v[65:66], v[63:64]
	v_mul_f64 v[63:64], v[23:24], v[69:70]
	v_mul_f64 v[69:70], v[57:58], v[69:70]
	;; [unrolled: 1-line block ×3, first 2 shown]
	ds_read2_b64 v[63:66], v77 offset0:18 offset1:19
	v_mul_f64 v[69:70], v[51:52], v[69:70]
	s_waitcnt lgkmcnt(0)
	v_fma_f64 v[63:64], v[75:76], v[63:64], v[71:72]
	v_fma_f64 v[69:70], v[69:70], v[65:66], v[63:64]
	v_mul_f64 v[63:64], v[59:60], v[73:74]
	v_mul_f64 v[71:72], v[55:56], v[63:64]
	;; [unrolled: 1-line block ×4, first 2 shown]
	ds_read2_b64 v[63:66], v77 offset0:20 offset1:21
	s_waitcnt lgkmcnt(0)
	v_fma_f64 v[63:64], v[73:74], v[63:64], v[69:70]
	v_mul_f64 v[69:70], v[3:4], v[71:72]
	v_mul_f64 v[69:70], v[15:16], v[69:70]
	v_fma_f64 v[69:70], v[69:70], v[65:66], v[63:64]
	v_mul_f64 v[63:64], v[21:22], v[71:72]
	v_mul_f64 v[73:74], v[35:36], v[63:64]
	ds_read2_b64 v[63:66], v77 offset0:22 offset1:23
	s_waitcnt lgkmcnt(0)
	v_fma_f64 v[63:64], v[73:74], v[63:64], v[69:70]
	v_mul_f64 v[69:70], v[23:24], v[71:72]
	v_mul_f64 v[69:70], v[43:44], v[69:70]
	v_fma_f64 v[63:64], v[69:70], v[65:66], v[63:64]
	v_mul_f64 v[65:66], v[57:58], v[71:72]
	ds_read_b64 v[69:70], v77 offset:192
	v_mul_f64 v[65:66], v[51:52], v[65:66]
	s_waitcnt lgkmcnt(0)
	v_fma_f64 v[65:66], v[65:66], v[69:70], v[63:64]
	s_cbranch_scc1 .LBB1_51
; %bb.52:                               ;   in Loop: Header=BB1_24 Depth=1
	v_add_co_u32 v69, vcc_lo, 0x3800, v61
	v_mov_b32_e32 v63, 0
	v_add_co_ci_u32_e64 v70, null, 0, v62, vcc_lo
	v_mov_b32_e32 v64, 0
	s_mov_b32 s5, 0
	s_mov_b64 s[2:3], 5
	s_mov_b32 s6, 0
	global_store_dwordx2 v[69:70], v[65:66], off
.LBB1_53:                               ;   Parent Loop BB1_24 Depth=1
                                        ; =>  This Inner Loop Header: Depth=2
	s_add_i32 s7, s4, s5
	v_add_nc_u32_e32 v65, s5, v0
	v_mov_b32_e32 v69, s7
	v_mov_b32_e32 v77, s6
	s_add_u32 s2, s2, -1
	s_addc_u32 s3, s3, -1
	ds_read_b64 v[65:66], v65
	ds_read_b64 v[69:70], v69
	s_addk_i32 s6, 0xc8
	s_add_i32 s5, s5, 32
	s_cmp_lg_u64 s[2:3], 0
	s_waitcnt lgkmcnt(0)
	v_mul_f64 v[73:74], v[65:66], v[69:70]
	ds_read2_b64 v[69:72], v77 offset1:1
	v_mul_f64 v[65:66], v[25:26], v[73:74]
	v_mul_f64 v[75:76], v[11:12], v[65:66]
	;; [unrolled: 1-line block ×4, first 2 shown]
	s_waitcnt lgkmcnt(0)
	v_fma_f64 v[63:64], v[69:70], v[65:66], v[63:64]
	v_mul_f64 v[65:66], v[3:4], v[75:76]
	v_mul_f64 v[65:66], v[17:18], v[65:66]
	v_fma_f64 v[69:70], v[71:72], v[65:66], v[63:64]
	v_mul_f64 v[63:64], v[21:22], v[75:76]
	v_mul_f64 v[71:72], v[37:38], v[63:64]
	ds_read2_b64 v[63:66], v77 offset0:2 offset1:3
	s_waitcnt lgkmcnt(0)
	v_fma_f64 v[63:64], v[63:64], v[71:72], v[69:70]
	v_mul_f64 v[69:70], v[23:24], v[75:76]
	v_mul_f64 v[69:70], v[45:46], v[69:70]
	v_fma_f64 v[69:70], v[65:66], v[69:70], v[63:64]
	v_mul_f64 v[63:64], v[57:58], v[75:76]
	v_mul_f64 v[71:72], v[53:54], v[63:64]
	ds_read2_b64 v[63:66], v77 offset0:4 offset1:5
	s_waitcnt lgkmcnt(0)
	v_fma_f64 v[63:64], v[71:72], v[63:64], v[69:70]
	v_mul_f64 v[69:70], v[27:28], v[73:74]
	v_mul_f64 v[69:70], v[19:20], v[69:70]
	;; [unrolled: 1-line block ×4, first 2 shown]
	v_fma_f64 v[71:72], v[71:72], v[65:66], v[63:64]
	v_mul_f64 v[63:64], v[3:4], v[69:70]
	v_mul_f64 v[75:76], v[17:18], v[63:64]
	ds_read2_b64 v[63:66], v77 offset0:6 offset1:7
	s_waitcnt lgkmcnt(0)
	v_fma_f64 v[63:64], v[75:76], v[63:64], v[71:72]
	v_mul_f64 v[71:72], v[21:22], v[69:70]
	v_mul_f64 v[71:72], v[37:38], v[71:72]
	v_fma_f64 v[71:72], v[71:72], v[65:66], v[63:64]
	v_mul_f64 v[63:64], v[23:24], v[69:70]
	v_mul_f64 v[69:70], v[57:58], v[69:70]
	v_mul_f64 v[75:76], v[45:46], v[63:64]
	ds_read2_b64 v[63:66], v77 offset0:8 offset1:9
	v_mul_f64 v[69:70], v[53:54], v[69:70]
	s_waitcnt lgkmcnt(0)
	v_fma_f64 v[63:64], v[75:76], v[63:64], v[71:72]
	v_fma_f64 v[69:70], v[69:70], v[65:66], v[63:64]
	v_mul_f64 v[63:64], v[29:30], v[73:74]
	v_mul_f64 v[71:72], v[39:40], v[63:64]
	;; [unrolled: 1-line block ×4, first 2 shown]
	ds_read2_b64 v[63:66], v77 offset0:10 offset1:11
	s_waitcnt lgkmcnt(0)
	v_fma_f64 v[63:64], v[75:76], v[63:64], v[69:70]
	v_mul_f64 v[69:70], v[3:4], v[71:72]
	v_mul_f64 v[69:70], v[17:18], v[69:70]
	v_fma_f64 v[69:70], v[69:70], v[65:66], v[63:64]
	v_mul_f64 v[63:64], v[21:22], v[71:72]
	v_mul_f64 v[75:76], v[37:38], v[63:64]
	ds_read2_b64 v[63:66], v77 offset0:12 offset1:13
	s_waitcnt lgkmcnt(0)
	v_fma_f64 v[63:64], v[75:76], v[63:64], v[69:70]
	v_mul_f64 v[69:70], v[23:24], v[71:72]
	v_mul_f64 v[69:70], v[45:46], v[69:70]
	v_fma_f64 v[69:70], v[69:70], v[65:66], v[63:64]
	v_mul_f64 v[63:64], v[57:58], v[71:72]
	v_mul_f64 v[71:72], v[53:54], v[63:64]
	ds_read2_b64 v[63:66], v77 offset0:14 offset1:15
	s_waitcnt lgkmcnt(0)
	v_fma_f64 v[63:64], v[71:72], v[63:64], v[69:70]
	v_mul_f64 v[69:70], v[31:32], v[73:74]
	v_mul_f64 v[69:70], v[47:48], v[69:70]
	;; [unrolled: 1-line block ×4, first 2 shown]
	v_fma_f64 v[71:72], v[71:72], v[65:66], v[63:64]
	v_mul_f64 v[63:64], v[3:4], v[69:70]
	v_mul_f64 v[75:76], v[17:18], v[63:64]
	ds_read2_b64 v[63:66], v77 offset0:16 offset1:17
	s_waitcnt lgkmcnt(0)
	v_fma_f64 v[63:64], v[75:76], v[63:64], v[71:72]
	v_mul_f64 v[71:72], v[21:22], v[69:70]
	v_mul_f64 v[71:72], v[37:38], v[71:72]
	v_fma_f64 v[71:72], v[71:72], v[65:66], v[63:64]
	v_mul_f64 v[63:64], v[23:24], v[69:70]
	v_mul_f64 v[69:70], v[57:58], v[69:70]
	v_mul_f64 v[75:76], v[45:46], v[63:64]
	ds_read2_b64 v[63:66], v77 offset0:18 offset1:19
	v_mul_f64 v[69:70], v[53:54], v[69:70]
	s_waitcnt lgkmcnt(0)
	v_fma_f64 v[63:64], v[75:76], v[63:64], v[71:72]
	v_fma_f64 v[69:70], v[69:70], v[65:66], v[63:64]
	v_mul_f64 v[63:64], v[59:60], v[73:74]
	v_mul_f64 v[71:72], v[55:56], v[63:64]
	;; [unrolled: 1-line block ×4, first 2 shown]
	ds_read2_b64 v[63:66], v77 offset0:20 offset1:21
	s_waitcnt lgkmcnt(0)
	v_fma_f64 v[63:64], v[73:74], v[63:64], v[69:70]
	v_mul_f64 v[69:70], v[3:4], v[71:72]
	v_mul_f64 v[69:70], v[17:18], v[69:70]
	v_fma_f64 v[69:70], v[69:70], v[65:66], v[63:64]
	v_mul_f64 v[63:64], v[21:22], v[71:72]
	v_mul_f64 v[73:74], v[37:38], v[63:64]
	ds_read2_b64 v[63:66], v77 offset0:22 offset1:23
	s_waitcnt lgkmcnt(0)
	v_fma_f64 v[63:64], v[73:74], v[63:64], v[69:70]
	v_mul_f64 v[69:70], v[23:24], v[71:72]
	v_mul_f64 v[69:70], v[45:46], v[69:70]
	v_fma_f64 v[63:64], v[69:70], v[65:66], v[63:64]
	v_mul_f64 v[65:66], v[57:58], v[71:72]
	ds_read_b64 v[69:70], v77 offset:192
	v_mul_f64 v[65:66], v[53:54], v[65:66]
	s_waitcnt lgkmcnt(0)
	v_fma_f64 v[63:64], v[65:66], v[69:70], v[63:64]
	s_cbranch_scc1 .LBB1_53
; %bb.54:                               ;   in Loop: Header=BB1_24 Depth=1
	v_add_co_u32 v69, vcc_lo, 0x5800, v61
	v_mov_b32_e32 v65, 0
	v_add_co_ci_u32_e64 v70, null, 0, v62, vcc_lo
	v_mov_b32_e32 v66, 0
	s_mov_b32 s5, 0
	s_mov_b64 s[2:3], 5
	s_mov_b32 s6, 0
	global_store_dwordx2 v[69:70], v[63:64], off
.LBB1_55:                               ;   Parent Loop BB1_24 Depth=1
                                        ; =>  This Inner Loop Header: Depth=2
	s_add_i32 s7, s4, s5
	v_add_nc_u32_e32 v63, s5, v0
	v_mov_b32_e32 v69, s7
	v_mov_b32_e32 v77, s6
	s_add_u32 s2, s2, -1
	s_addc_u32 s3, s3, -1
	ds_read_b64 v[63:64], v63
	ds_read_b64 v[69:70], v69
	s_addk_i32 s6, 0xc8
	s_add_i32 s5, s5, 32
	s_cmp_lg_u64 s[2:3], 0
	s_waitcnt lgkmcnt(0)
	v_mul_f64 v[73:74], v[63:64], v[69:70]
	ds_read2_b64 v[69:72], v77 offset1:1
	v_mul_f64 v[63:64], v[25:26], v[73:74]
	v_mul_f64 v[75:76], v[11:12], v[63:64]
	;; [unrolled: 1-line block ×4, first 2 shown]
	s_waitcnt lgkmcnt(0)
	v_fma_f64 v[63:64], v[69:70], v[63:64], v[65:66]
	v_mul_f64 v[65:66], v[3:4], v[75:76]
	v_mul_f64 v[65:66], v[19:20], v[65:66]
	v_fma_f64 v[69:70], v[71:72], v[65:66], v[63:64]
	v_mul_f64 v[63:64], v[21:22], v[75:76]
	v_mul_f64 v[71:72], v[39:40], v[63:64]
	ds_read2_b64 v[63:66], v77 offset0:2 offset1:3
	s_waitcnt lgkmcnt(0)
	v_fma_f64 v[63:64], v[63:64], v[71:72], v[69:70]
	v_mul_f64 v[69:70], v[23:24], v[75:76]
	v_mul_f64 v[69:70], v[47:48], v[69:70]
	v_fma_f64 v[69:70], v[65:66], v[69:70], v[63:64]
	v_mul_f64 v[63:64], v[57:58], v[75:76]
	v_mul_f64 v[71:72], v[55:56], v[63:64]
	ds_read2_b64 v[63:66], v77 offset0:4 offset1:5
	s_waitcnt lgkmcnt(0)
	v_fma_f64 v[63:64], v[71:72], v[63:64], v[69:70]
	v_mul_f64 v[69:70], v[27:28], v[73:74]
	v_mul_f64 v[69:70], v[19:20], v[69:70]
	;; [unrolled: 1-line block ×4, first 2 shown]
	v_fma_f64 v[71:72], v[71:72], v[65:66], v[63:64]
	v_mul_f64 v[63:64], v[3:4], v[69:70]
	v_mul_f64 v[75:76], v[19:20], v[63:64]
	ds_read2_b64 v[63:66], v77 offset0:6 offset1:7
	s_waitcnt lgkmcnt(0)
	v_fma_f64 v[63:64], v[75:76], v[63:64], v[71:72]
	v_mul_f64 v[71:72], v[21:22], v[69:70]
	v_mul_f64 v[71:72], v[39:40], v[71:72]
	v_fma_f64 v[71:72], v[71:72], v[65:66], v[63:64]
	v_mul_f64 v[63:64], v[23:24], v[69:70]
	v_mul_f64 v[69:70], v[57:58], v[69:70]
	;; [unrolled: 1-line block ×3, first 2 shown]
	ds_read2_b64 v[63:66], v77 offset0:8 offset1:9
	v_mul_f64 v[69:70], v[55:56], v[69:70]
	s_waitcnt lgkmcnt(0)
	v_fma_f64 v[63:64], v[75:76], v[63:64], v[71:72]
	v_fma_f64 v[69:70], v[69:70], v[65:66], v[63:64]
	v_mul_f64 v[63:64], v[29:30], v[73:74]
	v_mul_f64 v[71:72], v[39:40], v[63:64]
	;; [unrolled: 1-line block ×4, first 2 shown]
	ds_read2_b64 v[63:66], v77 offset0:10 offset1:11
	s_waitcnt lgkmcnt(0)
	v_fma_f64 v[63:64], v[75:76], v[63:64], v[69:70]
	v_mul_f64 v[69:70], v[3:4], v[71:72]
	v_mul_f64 v[69:70], v[19:20], v[69:70]
	v_fma_f64 v[69:70], v[69:70], v[65:66], v[63:64]
	v_mul_f64 v[63:64], v[21:22], v[71:72]
	v_mul_f64 v[75:76], v[39:40], v[63:64]
	ds_read2_b64 v[63:66], v77 offset0:12 offset1:13
	s_waitcnt lgkmcnt(0)
	v_fma_f64 v[63:64], v[75:76], v[63:64], v[69:70]
	v_mul_f64 v[69:70], v[23:24], v[71:72]
	v_mul_f64 v[69:70], v[47:48], v[69:70]
	v_fma_f64 v[69:70], v[69:70], v[65:66], v[63:64]
	v_mul_f64 v[63:64], v[57:58], v[71:72]
	v_mul_f64 v[71:72], v[55:56], v[63:64]
	ds_read2_b64 v[63:66], v77 offset0:14 offset1:15
	s_waitcnt lgkmcnt(0)
	v_fma_f64 v[63:64], v[71:72], v[63:64], v[69:70]
	v_mul_f64 v[69:70], v[31:32], v[73:74]
	v_mul_f64 v[69:70], v[47:48], v[69:70]
	;; [unrolled: 1-line block ×4, first 2 shown]
	v_fma_f64 v[71:72], v[71:72], v[65:66], v[63:64]
	v_mul_f64 v[63:64], v[3:4], v[69:70]
	v_mul_f64 v[75:76], v[19:20], v[63:64]
	ds_read2_b64 v[63:66], v77 offset0:16 offset1:17
	s_waitcnt lgkmcnt(0)
	v_fma_f64 v[63:64], v[75:76], v[63:64], v[71:72]
	v_mul_f64 v[71:72], v[21:22], v[69:70]
	v_mul_f64 v[71:72], v[39:40], v[71:72]
	v_fma_f64 v[71:72], v[71:72], v[65:66], v[63:64]
	v_mul_f64 v[63:64], v[23:24], v[69:70]
	v_mul_f64 v[69:70], v[57:58], v[69:70]
	;; [unrolled: 1-line block ×3, first 2 shown]
	ds_read2_b64 v[63:66], v77 offset0:18 offset1:19
	v_mul_f64 v[69:70], v[55:56], v[69:70]
	s_waitcnt lgkmcnt(0)
	v_fma_f64 v[63:64], v[75:76], v[63:64], v[71:72]
	v_fma_f64 v[69:70], v[69:70], v[65:66], v[63:64]
	v_mul_f64 v[63:64], v[59:60], v[73:74]
	v_mul_f64 v[71:72], v[55:56], v[63:64]
	;; [unrolled: 1-line block ×4, first 2 shown]
	ds_read2_b64 v[63:66], v77 offset0:20 offset1:21
	s_waitcnt lgkmcnt(0)
	v_fma_f64 v[63:64], v[73:74], v[63:64], v[69:70]
	v_mul_f64 v[69:70], v[3:4], v[71:72]
	v_mul_f64 v[69:70], v[19:20], v[69:70]
	v_fma_f64 v[69:70], v[69:70], v[65:66], v[63:64]
	v_mul_f64 v[63:64], v[21:22], v[71:72]
	v_mul_f64 v[73:74], v[39:40], v[63:64]
	ds_read2_b64 v[63:66], v77 offset0:22 offset1:23
	s_waitcnt lgkmcnt(0)
	v_fma_f64 v[63:64], v[73:74], v[63:64], v[69:70]
	v_mul_f64 v[69:70], v[23:24], v[71:72]
	v_mul_f64 v[69:70], v[47:48], v[69:70]
	v_fma_f64 v[63:64], v[69:70], v[65:66], v[63:64]
	v_mul_f64 v[65:66], v[57:58], v[71:72]
	ds_read_b64 v[69:70], v77 offset:192
	v_mul_f64 v[65:66], v[55:56], v[65:66]
	s_waitcnt lgkmcnt(0)
	v_fma_f64 v[65:66], v[65:66], v[69:70], v[63:64]
	s_cbranch_scc1 .LBB1_55
; %bb.56:                               ;   in Loop: Header=BB1_24 Depth=1
	v_add_co_u32 v61, vcc_lo, 0x7800, v61
	v_add_co_ci_u32_e64 v62, null, 0, v62, vcc_lo
	s_add_u32 s0, s0, 1
	s_addc_u32 s1, s1, 0
	s_add_i32 s4, s4, 8
	s_cmp_eq_u64 s[0:1], 4
	global_store_dwordx2 v[61:62], v[65:66], off
	s_cbranch_scc0 .LBB1_24
.LBB1_57:
	s_endpgm
	.section	.rodata,"a",@progbits
	.p2align	6, 0x0
	.amdhsa_kernel _ZN4RAJA34launch_new_reduce_global_fcn_fixedIZN8rajaperf4apps8MASS3DEA17runHipVariantImplILm64ELm0EEEvNS1_9VariantIDEEUlNS_14LaunchContextTINS_3hip33LaunchContextIndicesAndDimsPolicyINS7_14IndicesAndDimsILb0ELb0ELb0ELb0EEEEEEEE_Li64ENS_4expt15ForallParamPackIJEEEEEvT_T1_
		.amdhsa_group_segment_fixed_size 1168
		.amdhsa_private_segment_fixed_size 0
		.amdhsa_kernarg_size 36
		.amdhsa_user_sgpr_count 6
		.amdhsa_user_sgpr_private_segment_buffer 1
		.amdhsa_user_sgpr_dispatch_ptr 0
		.amdhsa_user_sgpr_queue_ptr 0
		.amdhsa_user_sgpr_kernarg_segment_ptr 1
		.amdhsa_user_sgpr_dispatch_id 0
		.amdhsa_user_sgpr_flat_scratch_init 0
		.amdhsa_user_sgpr_private_segment_size 0
		.amdhsa_wavefront_size32 1
		.amdhsa_uses_dynamic_stack 0
		.amdhsa_system_sgpr_private_segment_wavefront_offset 0
		.amdhsa_system_sgpr_workgroup_id_x 1
		.amdhsa_system_sgpr_workgroup_id_y 0
		.amdhsa_system_sgpr_workgroup_id_z 0
		.amdhsa_system_sgpr_workgroup_info 0
		.amdhsa_system_vgpr_workitem_id 2
		.amdhsa_next_free_vgpr 78
		.amdhsa_next_free_sgpr 16
		.amdhsa_reserve_vcc 1
		.amdhsa_reserve_flat_scratch 0
		.amdhsa_float_round_mode_32 0
		.amdhsa_float_round_mode_16_64 0
		.amdhsa_float_denorm_mode_32 3
		.amdhsa_float_denorm_mode_16_64 3
		.amdhsa_dx10_clamp 1
		.amdhsa_ieee_mode 1
		.amdhsa_fp16_overflow 0
		.amdhsa_workgroup_processor_mode 1
		.amdhsa_memory_ordered 1
		.amdhsa_forward_progress 1
		.amdhsa_shared_vgpr_count 0
		.amdhsa_exception_fp_ieee_invalid_op 0
		.amdhsa_exception_fp_denorm_src 0
		.amdhsa_exception_fp_ieee_div_zero 0
		.amdhsa_exception_fp_ieee_overflow 0
		.amdhsa_exception_fp_ieee_underflow 0
		.amdhsa_exception_fp_ieee_inexact 0
		.amdhsa_exception_int_div_zero 0
	.end_amdhsa_kernel
	.section	.text._ZN4RAJA34launch_new_reduce_global_fcn_fixedIZN8rajaperf4apps8MASS3DEA17runHipVariantImplILm64ELm0EEEvNS1_9VariantIDEEUlNS_14LaunchContextTINS_3hip33LaunchContextIndicesAndDimsPolicyINS7_14IndicesAndDimsILb0ELb0ELb0ELb0EEEEEEEE_Li64ENS_4expt15ForallParamPackIJEEEEEvT_T1_,"axG",@progbits,_ZN4RAJA34launch_new_reduce_global_fcn_fixedIZN8rajaperf4apps8MASS3DEA17runHipVariantImplILm64ELm0EEEvNS1_9VariantIDEEUlNS_14LaunchContextTINS_3hip33LaunchContextIndicesAndDimsPolicyINS7_14IndicesAndDimsILb0ELb0ELb0ELb0EEEEEEEE_Li64ENS_4expt15ForallParamPackIJEEEEEvT_T1_,comdat
.Lfunc_end1:
	.size	_ZN4RAJA34launch_new_reduce_global_fcn_fixedIZN8rajaperf4apps8MASS3DEA17runHipVariantImplILm64ELm0EEEvNS1_9VariantIDEEUlNS_14LaunchContextTINS_3hip33LaunchContextIndicesAndDimsPolicyINS7_14IndicesAndDimsILb0ELb0ELb0ELb0EEEEEEEE_Li64ENS_4expt15ForallParamPackIJEEEEEvT_T1_, .Lfunc_end1-_ZN4RAJA34launch_new_reduce_global_fcn_fixedIZN8rajaperf4apps8MASS3DEA17runHipVariantImplILm64ELm0EEEvNS1_9VariantIDEEUlNS_14LaunchContextTINS_3hip33LaunchContextIndicesAndDimsPolicyINS7_14IndicesAndDimsILb0ELb0ELb0ELb0EEEEEEEE_Li64ENS_4expt15ForallParamPackIJEEEEEvT_T1_
                                        ; -- End function
	.set _ZN4RAJA34launch_new_reduce_global_fcn_fixedIZN8rajaperf4apps8MASS3DEA17runHipVariantImplILm64ELm0EEEvNS1_9VariantIDEEUlNS_14LaunchContextTINS_3hip33LaunchContextIndicesAndDimsPolicyINS7_14IndicesAndDimsILb0ELb0ELb0ELb0EEEEEEEE_Li64ENS_4expt15ForallParamPackIJEEEEEvT_T1_.num_vgpr, 78
	.set _ZN4RAJA34launch_new_reduce_global_fcn_fixedIZN8rajaperf4apps8MASS3DEA17runHipVariantImplILm64ELm0EEEvNS1_9VariantIDEEUlNS_14LaunchContextTINS_3hip33LaunchContextIndicesAndDimsPolicyINS7_14IndicesAndDimsILb0ELb0ELb0ELb0EEEEEEEE_Li64ENS_4expt15ForallParamPackIJEEEEEvT_T1_.num_agpr, 0
	.set _ZN4RAJA34launch_new_reduce_global_fcn_fixedIZN8rajaperf4apps8MASS3DEA17runHipVariantImplILm64ELm0EEEvNS1_9VariantIDEEUlNS_14LaunchContextTINS_3hip33LaunchContextIndicesAndDimsPolicyINS7_14IndicesAndDimsILb0ELb0ELb0ELb0EEEEEEEE_Li64ENS_4expt15ForallParamPackIJEEEEEvT_T1_.numbered_sgpr, 16
	.set _ZN4RAJA34launch_new_reduce_global_fcn_fixedIZN8rajaperf4apps8MASS3DEA17runHipVariantImplILm64ELm0EEEvNS1_9VariantIDEEUlNS_14LaunchContextTINS_3hip33LaunchContextIndicesAndDimsPolicyINS7_14IndicesAndDimsILb0ELb0ELb0ELb0EEEEEEEE_Li64ENS_4expt15ForallParamPackIJEEEEEvT_T1_.num_named_barrier, 0
	.set _ZN4RAJA34launch_new_reduce_global_fcn_fixedIZN8rajaperf4apps8MASS3DEA17runHipVariantImplILm64ELm0EEEvNS1_9VariantIDEEUlNS_14LaunchContextTINS_3hip33LaunchContextIndicesAndDimsPolicyINS7_14IndicesAndDimsILb0ELb0ELb0ELb0EEEEEEEE_Li64ENS_4expt15ForallParamPackIJEEEEEvT_T1_.private_seg_size, 0
	.set _ZN4RAJA34launch_new_reduce_global_fcn_fixedIZN8rajaperf4apps8MASS3DEA17runHipVariantImplILm64ELm0EEEvNS1_9VariantIDEEUlNS_14LaunchContextTINS_3hip33LaunchContextIndicesAndDimsPolicyINS7_14IndicesAndDimsILb0ELb0ELb0ELb0EEEEEEEE_Li64ENS_4expt15ForallParamPackIJEEEEEvT_T1_.uses_vcc, 1
	.set _ZN4RAJA34launch_new_reduce_global_fcn_fixedIZN8rajaperf4apps8MASS3DEA17runHipVariantImplILm64ELm0EEEvNS1_9VariantIDEEUlNS_14LaunchContextTINS_3hip33LaunchContextIndicesAndDimsPolicyINS7_14IndicesAndDimsILb0ELb0ELb0ELb0EEEEEEEE_Li64ENS_4expt15ForallParamPackIJEEEEEvT_T1_.uses_flat_scratch, 0
	.set _ZN4RAJA34launch_new_reduce_global_fcn_fixedIZN8rajaperf4apps8MASS3DEA17runHipVariantImplILm64ELm0EEEvNS1_9VariantIDEEUlNS_14LaunchContextTINS_3hip33LaunchContextIndicesAndDimsPolicyINS7_14IndicesAndDimsILb0ELb0ELb0ELb0EEEEEEEE_Li64ENS_4expt15ForallParamPackIJEEEEEvT_T1_.has_dyn_sized_stack, 0
	.set _ZN4RAJA34launch_new_reduce_global_fcn_fixedIZN8rajaperf4apps8MASS3DEA17runHipVariantImplILm64ELm0EEEvNS1_9VariantIDEEUlNS_14LaunchContextTINS_3hip33LaunchContextIndicesAndDimsPolicyINS7_14IndicesAndDimsILb0ELb0ELb0ELb0EEEEEEEE_Li64ENS_4expt15ForallParamPackIJEEEEEvT_T1_.has_recursion, 0
	.set _ZN4RAJA34launch_new_reduce_global_fcn_fixedIZN8rajaperf4apps8MASS3DEA17runHipVariantImplILm64ELm0EEEvNS1_9VariantIDEEUlNS_14LaunchContextTINS_3hip33LaunchContextIndicesAndDimsPolicyINS7_14IndicesAndDimsILb0ELb0ELb0ELb0EEEEEEEE_Li64ENS_4expt15ForallParamPackIJEEEEEvT_T1_.has_indirect_call, 0
	.section	.AMDGPU.csdata,"",@progbits
; Kernel info:
; codeLenInByte = 16352
; TotalNumSgprs: 18
; NumVgprs: 78
; ScratchSize: 0
; MemoryBound: 0
; FloatMode: 240
; IeeeMode: 1
; LDSByteSize: 1168 bytes/workgroup (compile time only)
; SGPRBlocks: 0
; VGPRBlocks: 9
; NumSGPRsForWavesPerEU: 18
; NumVGPRsForWavesPerEU: 78
; Occupancy: 12
; WaveLimiterHint : 0
; COMPUTE_PGM_RSRC2:SCRATCH_EN: 0
; COMPUTE_PGM_RSRC2:USER_SGPR: 6
; COMPUTE_PGM_RSRC2:TRAP_HANDLER: 0
; COMPUTE_PGM_RSRC2:TGID_X_EN: 1
; COMPUTE_PGM_RSRC2:TGID_Y_EN: 0
; COMPUTE_PGM_RSRC2:TGID_Z_EN: 0
; COMPUTE_PGM_RSRC2:TIDIG_COMP_CNT: 2
	.section	.text._ZN4RAJA34launch_new_reduce_global_fcn_fixedIZN8rajaperf4apps8MASS3DEA17runHipVariantImplILm64ELm1EEEvNS1_9VariantIDEEUlNS_14LaunchContextTINS_3hip33LaunchContextIndicesAndDimsPolicyINS7_14IndicesAndDimsILb0ELb0ELb1ELb0EEEEEEEE_Li64ENS_4expt15ForallParamPackIJEEEEEvT_T1_,"axG",@progbits,_ZN4RAJA34launch_new_reduce_global_fcn_fixedIZN8rajaperf4apps8MASS3DEA17runHipVariantImplILm64ELm1EEEvNS1_9VariantIDEEUlNS_14LaunchContextTINS_3hip33LaunchContextIndicesAndDimsPolicyINS7_14IndicesAndDimsILb0ELb0ELb1ELb0EEEEEEEE_Li64ENS_4expt15ForallParamPackIJEEEEEvT_T1_,comdat
	.protected	_ZN4RAJA34launch_new_reduce_global_fcn_fixedIZN8rajaperf4apps8MASS3DEA17runHipVariantImplILm64ELm1EEEvNS1_9VariantIDEEUlNS_14LaunchContextTINS_3hip33LaunchContextIndicesAndDimsPolicyINS7_14IndicesAndDimsILb0ELb0ELb1ELb0EEEEEEEE_Li64ENS_4expt15ForallParamPackIJEEEEEvT_T1_ ; -- Begin function _ZN4RAJA34launch_new_reduce_global_fcn_fixedIZN8rajaperf4apps8MASS3DEA17runHipVariantImplILm64ELm1EEEvNS1_9VariantIDEEUlNS_14LaunchContextTINS_3hip33LaunchContextIndicesAndDimsPolicyINS7_14IndicesAndDimsILb0ELb0ELb1ELb0EEEEEEEE_Li64ENS_4expt15ForallParamPackIJEEEEEvT_T1_
	.globl	_ZN4RAJA34launch_new_reduce_global_fcn_fixedIZN8rajaperf4apps8MASS3DEA17runHipVariantImplILm64ELm1EEEvNS1_9VariantIDEEUlNS_14LaunchContextTINS_3hip33LaunchContextIndicesAndDimsPolicyINS7_14IndicesAndDimsILb0ELb0ELb1ELb0EEEEEEEE_Li64ENS_4expt15ForallParamPackIJEEEEEvT_T1_
	.p2align	8
	.type	_ZN4RAJA34launch_new_reduce_global_fcn_fixedIZN8rajaperf4apps8MASS3DEA17runHipVariantImplILm64ELm1EEEvNS1_9VariantIDEEUlNS_14LaunchContextTINS_3hip33LaunchContextIndicesAndDimsPolicyINS7_14IndicesAndDimsILb0ELb0ELb1ELb0EEEEEEEE_Li64ENS_4expt15ForallParamPackIJEEEEEvT_T1_,@function
_ZN4RAJA34launch_new_reduce_global_fcn_fixedIZN8rajaperf4apps8MASS3DEA17runHipVariantImplILm64ELm1EEEvNS1_9VariantIDEEUlNS_14LaunchContextTINS_3hip33LaunchContextIndicesAndDimsPolicyINS7_14IndicesAndDimsILb0ELb0ELb1ELb0EEEEEEEE_Li64ENS_4expt15ForallParamPackIJEEEEEvT_T1_: ; @_ZN4RAJA34launch_new_reduce_global_fcn_fixedIZN8rajaperf4apps8MASS3DEA17runHipVariantImplILm64ELm1EEEvNS1_9VariantIDEEUlNS_14LaunchContextTINS_3hip33LaunchContextIndicesAndDimsPolicyINS7_14IndicesAndDimsILb0ELb0ELb1ELb0EEEEEEEE_Li64ENS_4expt15ForallParamPackIJEEEEEvT_T1_
; %bb.0:
	s_load_dwordx8 s[8:15], s[4:5], 0x0
	s_mov_b32 s7, 0
	s_waitcnt lgkmcnt(0)
	v_cmp_le_i64_e64 s0, s[8:9], s[6:7]
	s_and_b32 vcc_lo, exec_lo, s0
	s_cbranch_vccnz .LBB2_39
; %bb.1:
	s_load_dwordx2 s[0:1], s[4:5], 0x34
	v_mov_b32_e32 v4, v1
	s_mov_b32 s2, exec_lo
                                        ; implicit-def: $vgpr6_vgpr7
	s_waitcnt lgkmcnt(0)
	s_and_b32 s4, s0, 0xffff
	v_cmpx_ne_u32_e32 0, v2
	s_xor_b32 s2, exec_lo, s2
; %bb.2:
	s_mov_b32 s5, 0
	v_mov_b32_e32 v1, 0
	v_mov_b32_e32 v7, s5
	;; [unrolled: 1-line block ×3, first 2 shown]
; %bb.3:
	s_or_saveexec_b32 s3, s2
	s_and_b32 s16, s1, 0xffff
	s_lshr_b32 s17, s0, 16
	s_xor_b32 exec_lo, exec_lo, s3
	s_cbranch_execz .LBB2_13
; %bb.4:
	v_mov_b32_e32 v1, 0
	v_lshlrev_b32_e32 v5, 3, v4
	v_lshlrev_b32_e32 v3, 5, v4
	;; [unrolled: 1-line block ×3, first 2 shown]
	v_cmp_gt_u32_e64 s0, 4, v0
	v_mov_b32_e32 v6, v1
	v_cmp_gt_u32_e64 s1, 5, v4
	s_cmp_lg_u32 s16, 0
	v_add3_u32 v3, v3, v8, 0x3f0
	s_mov_b32 s5, 0
	v_mad_u64_u32 v[6:7], null, v0, 40, v[5:6]
	v_mov_b32_e32 v5, v1
	s_mul_i32 s8, s4, 40
	s_cselect_b32 s9, -1, 0
	s_lshl_b32 s18, s17, 5
	v_add_co_u32 v6, vcc_lo, s10, v6
	v_add_co_ci_u32_e64 v7, null, s11, v7, vcc_lo
	s_lshl_b32 s10, s17, 3
	s_lshl_b32 s11, s4, 3
	s_branch .LBB2_6
.LBB2_5:                                ;   in Loop: Header=BB2_6 Depth=1
	s_inst_prefetch 0x2
	s_or_b32 exec_lo, exec_lo, s19
	s_andn2_b32 vcc_lo, exec_lo, s9
	s_cbranch_vccz .LBB2_12
.LBB2_6:                                ; =>This Loop Header: Depth=1
                                        ;     Child Loop BB2_9 Depth 2
                                        ;       Child Loop BB2_11 Depth 3
	s_and_saveexec_b32 s19, s0
	s_cbranch_execz .LBB2_5
; %bb.7:                                ;   in Loop: Header=BB2_6 Depth=1
	v_mov_b32_e32 v9, v7
	v_mov_b32_e32 v11, v1
	;; [unrolled: 1-line block ×5, first 2 shown]
	s_mov_b32 s20, 0
	s_inst_prefetch 0x1
	s_branch .LBB2_9
	.p2align	6
.LBB2_8:                                ;   in Loop: Header=BB2_9 Depth=2
	s_or_b32 exec_lo, exec_lo, s21
	v_add_co_u32 v10, vcc_lo, v10, s4
	v_add_co_ci_u32_e64 v11, null, 0, v11, vcc_lo
	v_add_co_u32 v8, s2, v8, s8
	v_add_co_ci_u32_e64 v9, null, 0, v9, s2
	v_cmp_lt_u64_e32 vcc_lo, 3, v[10:11]
	v_add_nc_u32_e32 v16, s11, v16
	s_or_b32 s20, vcc_lo, s20
	s_andn2_b32 exec_lo, exec_lo, s20
	s_cbranch_execz .LBB2_5
.LBB2_9:                                ;   Parent Loop BB2_6 Depth=1
                                        ; =>  This Loop Header: Depth=2
                                        ;       Child Loop BB2_11 Depth 3
	s_and_saveexec_b32 s21, s1
	s_cbranch_execz .LBB2_8
; %bb.10:                               ;   in Loop: Header=BB2_9 Depth=2
	v_mov_b32_e32 v13, v9
	v_mov_b32_e32 v15, v5
	;; [unrolled: 1-line block ×5, first 2 shown]
	s_mov_b32 s22, 0
	.p2align	6
.LBB2_11:                               ;   Parent Loop BB2_6 Depth=1
                                        ;     Parent Loop BB2_9 Depth=2
                                        ; =>    This Inner Loop Header: Depth=3
	global_load_dwordx2 v[18:19], v[12:13], off
	v_add_co_u32 v14, vcc_lo, v14, s17
	v_add_co_ci_u32_e64 v15, null, 0, v15, vcc_lo
	v_add_co_u32 v12, vcc_lo, v12, s10
	v_add_co_ci_u32_e64 v13, null, 0, v13, vcc_lo
	v_cmp_lt_u64_e64 s2, 4, v[14:15]
	s_or_b32 s22, s2, s22
	s_waitcnt vmcnt(0)
	ds_write_b64 v17, v[18:19]
	v_add_nc_u32_e32 v17, s18, v17
	s_andn2_b32 exec_lo, exec_lo, s22
	s_cbranch_execnz .LBB2_11
	s_branch .LBB2_8
.LBB2_12:
	v_mov_b32_e32 v7, s5
	v_mov_b32_e32 v6, s4
.LBB2_13:
	s_or_b32 exec_lo, exec_lo, s3
	v_mov_b32_e32 v3, 0
	s_mov_b32 s5, 0
	s_mov_b32 s3, exec_lo
	v_cmpx_gt_u32_e32 5, v0
	s_cbranch_execz .LBB2_22
; %bb.14:
	v_mul_hi_u32_u24_e32 v9, 0xc8, v2
	v_mul_u32_u24_e32 v8, 0xc8, v2
	v_lshlrev_b64 v[12:13], 3, v[0:1]
	v_mul_lo_u32 v14, 0xc8, v0
	v_mul_u32_u24_e32 v15, 40, v4
	v_lshlrev_b32_e32 v16, 3, v2
	v_mad_u64_u32 v[8:9], null, 0x3e8, s6, v[8:9]
	v_mul_lo_u32 v22, 0xc8, v6
	v_mov_b32_e32 v5, v3
	v_cmp_gt_u32_e64 s0, 5, v2
	v_add3_u32 v23, v14, v15, v16
	s_mul_i32 s8, s17, 40
	s_lshl_b32 s9, s16, 3
	v_mad_u64_u32 v[10:11], null, v4, 40, v[8:9]
	v_lshlrev_b64 v[8:9], 3, v[6:7]
	s_mul_i32 s10, s16, 0xc8
	v_cmp_gt_u32_e32 vcc_lo, 5, v4
	v_add_co_u32 v10, s1, v10, v12
	v_add_co_ci_u32_e64 v11, null, v11, v13, s1
	v_mov_b32_e32 v13, v1
	v_add_co_u32 v10, s1, s12, v10
	v_add_co_ci_u32_e64 v11, null, s13, v11, s1
	v_mov_b32_e32 v12, v0
	s_branch .LBB2_16
.LBB2_15:                               ;   in Loop: Header=BB2_16 Depth=1
	s_inst_prefetch 0x2
	s_or_b32 exec_lo, exec_lo, s11
	v_add_co_u32 v12, s1, v12, v6
	v_add_co_ci_u32_e64 v13, null, v13, v7, s1
	v_add_co_u32 v10, s2, v10, v8
	v_add_nc_u32_e32 v23, v23, v22
	v_cmp_lt_u64_e64 s1, 4, v[12:13]
	v_add_co_ci_u32_e64 v11, null, v11, v9, s2
	s_or_b32 s5, s1, s5
	s_andn2_b32 exec_lo, exec_lo, s5
	s_cbranch_execz .LBB2_22
.LBB2_16:                               ; =>This Loop Header: Depth=1
                                        ;     Child Loop BB2_19 Depth 2
                                        ;       Child Loop BB2_21 Depth 3
	s_and_saveexec_b32 s11, vcc_lo
	s_cbranch_execz .LBB2_15
; %bb.17:                               ;   in Loop: Header=BB2_16 Depth=1
	v_mov_b32_e32 v15, v11
	v_mov_b32_e32 v17, v5
	;; [unrolled: 1-line block ×5, first 2 shown]
	s_mov_b32 s12, 0
	s_inst_prefetch 0x1
	s_branch .LBB2_19
	.p2align	6
.LBB2_18:                               ;   in Loop: Header=BB2_19 Depth=2
	s_or_b32 exec_lo, exec_lo, s13
	v_add_co_u32 v16, s1, v16, s17
	v_add_co_ci_u32_e64 v17, null, 0, v17, s1
	v_add_co_u32 v14, s2, v14, s8
	v_add_nc_u32_e32 v24, s8, v24
	v_cmp_lt_u64_e64 s1, 4, v[16:17]
	v_add_co_ci_u32_e64 v15, null, 0, v15, s2
	s_or_b32 s12, s1, s12
	s_andn2_b32 exec_lo, exec_lo, s12
	s_cbranch_execz .LBB2_15
.LBB2_19:                               ;   Parent Loop BB2_16 Depth=1
                                        ; =>  This Loop Header: Depth=2
                                        ;       Child Loop BB2_21 Depth 3
	s_and_saveexec_b32 s13, s0
	s_cbranch_execz .LBB2_18
; %bb.20:                               ;   in Loop: Header=BB2_19 Depth=2
	v_mov_b32_e32 v19, v15
	v_mov_b32_e32 v21, v3
	;; [unrolled: 1-line block ×5, first 2 shown]
	s_mov_b32 s18, 0
	.p2align	6
.LBB2_21:                               ;   Parent Loop BB2_16 Depth=1
                                        ;     Parent Loop BB2_19 Depth=2
                                        ; =>    This Inner Loop Header: Depth=3
	global_load_dwordx2 v[26:27], v[18:19], off
	v_add_co_u32 v20, s1, v20, s16
	v_add_co_ci_u32_e64 v21, null, 0, v21, s1
	v_add_co_u32 v18, s1, v18, s10
	v_add_co_ci_u32_e64 v19, null, 0, v19, s1
	v_cmp_lt_u64_e64 s2, 4, v[20:21]
	s_or_b32 s18, s2, s18
	s_waitcnt vmcnt(0)
	ds_write_b64 v25, v[26:27]
	v_add_nc_u32_e32 v25, s9, v25
	s_andn2_b32 exec_lo, exec_lo, s18
	s_cbranch_execnz .LBB2_21
	s_branch .LBB2_18
.LBB2_22:
	s_or_b32 exec_lo, exec_lo, s3
	s_waitcnt lgkmcnt(0)
	s_barrier
	buffer_gl0_inv
	s_mov_b32 s0, exec_lo
	v_cmpx_gt_u32_e32 4, v0
	s_cbranch_execz .LBB2_39
; %bb.23:
	v_mov_b32_e32 v5, 0
	v_cmp_gt_u32_e64 s0, 4, v2
	s_lshl_b64 s[2:3], s[6:7], 15
	v_lshl_add_u32 v52, v0, 3, 0x3f0
	s_add_u32 s12, s14, s2
	s_mov_b32 s5, 0
	s_addc_u32 s13, s15, s3
	s_lshl_b32 s14, s4, 3
	v_cmp_gt_u32_e32 vcc_lo, 4, v4
	s_branch .LBB2_25
.LBB2_24:                               ;   in Loop: Header=BB2_25 Depth=1
	s_or_b32 exec_lo, exec_lo, s15
	v_add_co_u32 v0, s1, v0, s4
	v_add_co_ci_u32_e64 v1, null, 0, v1, s1
	v_add_nc_u32_e32 v52, s14, v52
	v_cmp_lt_u64_e64 s1, 3, v[0:1]
	s_or_b32 s5, s1, s5
	s_andn2_b32 exec_lo, exec_lo, s5
	s_cbranch_execz .LBB2_39
.LBB2_25:                               ; =>This Loop Header: Depth=1
                                        ;     Child Loop BB2_28 Depth 2
                                        ;       Child Loop BB2_30 Depth 3
                                        ;         Child Loop BB2_31 Depth 4
                                        ;           Child Loop BB2_32 Depth 5
                                        ;             Child Loop BB2_33 Depth 6
                                        ;               Child Loop BB2_34 Depth 7
	s_and_saveexec_b32 s15, vcc_lo
	s_cbranch_execz .LBB2_24
; %bb.26:                               ;   in Loop: Header=BB2_25 Depth=1
	v_lshlrev_b64 v[6:7], 3, v[0:1]
	v_mov_b32_e32 v39, v5
	v_mov_b32_e32 v38, v4
	s_mov_b32 s18, 0
	v_add_co_u32 v53, s1, s12, v6
	v_add_co_ci_u32_e64 v54, null, s13, v7, s1
	s_branch .LBB2_28
.LBB2_27:                               ;   in Loop: Header=BB2_28 Depth=2
	s_or_b32 exec_lo, exec_lo, s19
	v_add_co_u32 v38, s1, v38, s17
	v_add_co_ci_u32_e64 v39, null, 0, v39, s1
	v_cmp_lt_u64_e64 s1, 3, v[38:39]
	s_or_b32 s18, s1, s18
	s_andn2_b32 exec_lo, exec_lo, s18
	s_cbranch_execz .LBB2_24
.LBB2_28:                               ;   Parent Loop BB2_25 Depth=1
                                        ; =>  This Loop Header: Depth=2
                                        ;       Child Loop BB2_30 Depth 3
                                        ;         Child Loop BB2_31 Depth 4
                                        ;           Child Loop BB2_32 Depth 5
                                        ;             Child Loop BB2_33 Depth 6
                                        ;               Child Loop BB2_34 Depth 7
	s_and_saveexec_b32 s19, s0
	s_cbranch_execz .LBB2_27
; %bb.29:                               ;   in Loop: Header=BB2_28 Depth=2
	v_lshlrev_b32_e32 v14, 3, v38
	v_mov_b32_e32 v43, v3
	v_mov_b32_e32 v42, v2
	s_mov_b32 s20, 0
	ds_read2_b64 v[6:9], v14 offset0:126 offset1:130
	ds_read2_b64 v[10:13], v14 offset0:134 offset1:138
	ds_read_b64 v[40:41], v14 offset:1136
	v_lshlrev_b64 v[14:15], 5, v[38:39]
	v_add_co_u32 v55, s1, v53, v14
	v_add_co_ci_u32_e64 v56, null, v54, v15, s1
.LBB2_30:                               ;   Parent Loop BB2_25 Depth=1
                                        ;     Parent Loop BB2_28 Depth=2
                                        ; =>    This Loop Header: Depth=3
                                        ;         Child Loop BB2_31 Depth 4
                                        ;           Child Loop BB2_32 Depth 5
                                        ;             Child Loop BB2_33 Depth 6
                                        ;               Child Loop BB2_34 Depth 7
	v_lshlrev_b32_e32 v22, 3, v42
	s_mov_b64 s[2:3], 0
	s_movk_i32 s21, 0x3f0
	ds_read2_b64 v[14:17], v22 offset0:126 offset1:130
	ds_read2_b64 v[18:21], v22 offset0:134 offset1:138
	ds_read_b64 v[44:45], v22 offset:1136
	v_lshlrev_b64 v[22:23], 7, v[42:43]
	v_add_co_u32 v57, s1, v55, v22
	v_add_co_ci_u32_e64 v58, null, v56, v23, s1
.LBB2_31:                               ;   Parent Loop BB2_25 Depth=1
                                        ;     Parent Loop BB2_28 Depth=2
                                        ;       Parent Loop BB2_30 Depth=3
                                        ; =>      This Loop Header: Depth=4
                                        ;           Child Loop BB2_32 Depth 5
                                        ;             Child Loop BB2_33 Depth 6
                                        ;               Child Loop BB2_34 Depth 7
	s_lshl_b64 s[6:7], s[2:3], 9
	v_add_co_u32 v59, s1, v57, s6
	v_add_co_ci_u32_e64 v60, null, s7, v58, s1
	s_mov_b64 s[6:7], 0
.LBB2_32:                               ;   Parent Loop BB2_25 Depth=1
                                        ;     Parent Loop BB2_28 Depth=2
                                        ;       Parent Loop BB2_30 Depth=3
                                        ;         Parent Loop BB2_31 Depth=4
                                        ; =>        This Loop Header: Depth=5
                                        ;             Child Loop BB2_33 Depth 6
                                        ;               Child Loop BB2_34 Depth 7
	s_lshl_b32 s1, s6, 3
	s_lshl_b64 s[8:9], s[6:7], 11
	v_mov_b32_e32 v30, s1
	v_add_co_u32 v61, s1, v59, s8
	v_add_co_ci_u32_e64 v62, null, s9, v60, s1
	ds_read2_b64 v[22:25], v30 offset0:126 offset1:130
	ds_read2_b64 v[26:29], v30 offset0:134 offset1:138
	ds_read_b64 v[46:47], v30 offset:1136
	s_mov_b64 s[8:9], 0
.LBB2_33:                               ;   Parent Loop BB2_25 Depth=1
                                        ;     Parent Loop BB2_28 Depth=2
                                        ;       Parent Loop BB2_30 Depth=3
                                        ;         Parent Loop BB2_31 Depth=4
                                        ;           Parent Loop BB2_32 Depth=5
                                        ; =>          This Loop Header: Depth=6
                                        ;               Child Loop BB2_34 Depth 7
	s_lshl_b32 s1, s8, 3
	v_mov_b32_e32 v50, 0
	v_mov_b32_e32 v48, s1
	;; [unrolled: 1-line block ×4, first 2 shown]
	s_mov_b64 s[10:11], 5
	s_mov_b32 s1, 0
	ds_read2_b64 v[30:33], v48 offset0:126 offset1:130
	ds_read2_b64 v[34:37], v48 offset0:134 offset1:138
	ds_read_b64 v[48:49], v48 offset:1136
	s_mov_b32 s22, s21
.LBB2_34:                               ;   Parent Loop BB2_25 Depth=1
                                        ;     Parent Loop BB2_28 Depth=2
                                        ;       Parent Loop BB2_30 Depth=3
                                        ;         Parent Loop BB2_31 Depth=4
                                        ;           Parent Loop BB2_32 Depth=5
                                        ;             Parent Loop BB2_33 Depth=6
                                        ; =>            This Inner Loop Header: Depth=7
	v_mov_b32_e32 v66, s22
	ds_read_b64 v[64:65], v63
	v_mov_b32_e32 v74, s1
	s_add_u32 s10, s10, -1
	v_add_nc_u32_e32 v63, 32, v63
	ds_read_b64 v[66:67], v66
	s_addc_u32 s11, s11, -1
	s_addk_i32 s1, 0xc8
	s_add_i32 s22, s22, 32
	s_cmp_lg_u64 s[10:11], 0
	s_waitcnt lgkmcnt(0)
	v_mul_f64 v[68:69], v[64:65], v[66:67]
	v_mul_f64 v[64:65], v[6:7], v[68:69]
	;; [unrolled: 1-line block ×5, first 2 shown]
	ds_read2_b64 v[64:67], v74 offset1:1
	s_waitcnt lgkmcnt(0)
	v_fma_f64 v[50:51], v[64:65], v[72:73], v[50:51]
	v_mul_f64 v[64:65], v[16:17], v[70:71]
	v_mul_f64 v[64:65], v[32:33], v[64:65]
	v_fma_f64 v[50:51], v[66:67], v[64:65], v[50:51]
	v_mul_f64 v[64:65], v[18:19], v[70:71]
	v_mul_f64 v[72:73], v[34:35], v[64:65]
	ds_read2_b64 v[64:67], v74 offset0:2 offset1:3
	s_waitcnt lgkmcnt(0)
	v_fma_f64 v[50:51], v[64:65], v[72:73], v[50:51]
	v_mul_f64 v[64:65], v[20:21], v[70:71]
	v_mul_f64 v[70:71], v[44:45], v[70:71]
	;; [unrolled: 1-line block ×4, first 2 shown]
	v_fma_f64 v[50:51], v[66:67], v[64:65], v[50:51]
	ds_read2_b64 v[64:67], v74 offset0:4 offset1:5
	s_waitcnt lgkmcnt(0)
	v_fma_f64 v[50:51], v[70:71], v[64:65], v[50:51]
	v_mul_f64 v[64:65], v[8:9], v[68:69]
	v_mul_f64 v[70:71], v[24:25], v[64:65]
	;; [unrolled: 1-line block ×4, first 2 shown]
	v_fma_f64 v[50:51], v[64:65], v[66:67], v[50:51]
	v_mul_f64 v[64:65], v[16:17], v[70:71]
	v_mul_f64 v[72:73], v[32:33], v[64:65]
	ds_read2_b64 v[64:67], v74 offset0:6 offset1:7
	s_waitcnt lgkmcnt(0)
	v_fma_f64 v[50:51], v[72:73], v[64:65], v[50:51]
	v_mul_f64 v[64:65], v[18:19], v[70:71]
	v_mul_f64 v[64:65], v[34:35], v[64:65]
	v_fma_f64 v[50:51], v[64:65], v[66:67], v[50:51]
	v_mul_f64 v[64:65], v[20:21], v[70:71]
	v_mul_f64 v[72:73], v[36:37], v[64:65]
	ds_read2_b64 v[64:67], v74 offset0:8 offset1:9
	s_waitcnt lgkmcnt(0)
	v_fma_f64 v[50:51], v[72:73], v[64:65], v[50:51]
	v_mul_f64 v[64:65], v[44:45], v[70:71]
	v_mul_f64 v[64:65], v[48:49], v[64:65]
	v_fma_f64 v[50:51], v[64:65], v[66:67], v[50:51]
	v_mul_f64 v[64:65], v[10:11], v[68:69]
	v_mul_f64 v[70:71], v[26:27], v[64:65]
	;; [unrolled: 1-line block ×4, first 2 shown]
	ds_read2_b64 v[64:67], v74 offset0:10 offset1:11
	s_waitcnt lgkmcnt(0)
	v_fma_f64 v[50:51], v[72:73], v[64:65], v[50:51]
	v_mul_f64 v[64:65], v[16:17], v[70:71]
	v_mul_f64 v[64:65], v[32:33], v[64:65]
	v_fma_f64 v[50:51], v[64:65], v[66:67], v[50:51]
	v_mul_f64 v[64:65], v[18:19], v[70:71]
	v_mul_f64 v[72:73], v[34:35], v[64:65]
	ds_read2_b64 v[64:67], v74 offset0:12 offset1:13
	s_waitcnt lgkmcnt(0)
	v_fma_f64 v[50:51], v[72:73], v[64:65], v[50:51]
	v_mul_f64 v[64:65], v[20:21], v[70:71]
	v_mul_f64 v[70:71], v[44:45], v[70:71]
	v_mul_f64 v[64:65], v[36:37], v[64:65]
	v_mul_f64 v[70:71], v[48:49], v[70:71]
	v_fma_f64 v[50:51], v[64:65], v[66:67], v[50:51]
	ds_read2_b64 v[64:67], v74 offset0:14 offset1:15
	s_waitcnt lgkmcnt(0)
	v_fma_f64 v[50:51], v[70:71], v[64:65], v[50:51]
	v_mul_f64 v[64:65], v[12:13], v[68:69]
	v_mul_f64 v[68:69], v[40:41], v[68:69]
	;; [unrolled: 1-line block ×6, first 2 shown]
	v_fma_f64 v[50:51], v[64:65], v[66:67], v[50:51]
	v_mul_f64 v[64:65], v[16:17], v[70:71]
	v_mul_f64 v[72:73], v[32:33], v[64:65]
	ds_read2_b64 v[64:67], v74 offset0:16 offset1:17
	s_waitcnt lgkmcnt(0)
	v_fma_f64 v[50:51], v[72:73], v[64:65], v[50:51]
	v_mul_f64 v[64:65], v[18:19], v[70:71]
	v_mul_f64 v[64:65], v[34:35], v[64:65]
	v_fma_f64 v[50:51], v[64:65], v[66:67], v[50:51]
	v_mul_f64 v[64:65], v[20:21], v[70:71]
	v_mul_f64 v[72:73], v[36:37], v[64:65]
	ds_read2_b64 v[64:67], v74 offset0:18 offset1:19
	s_waitcnt lgkmcnt(0)
	v_fma_f64 v[50:51], v[72:73], v[64:65], v[50:51]
	v_mul_f64 v[64:65], v[44:45], v[70:71]
	v_mul_f64 v[70:71], v[14:15], v[68:69]
	v_mul_f64 v[64:65], v[48:49], v[64:65]
	v_mul_f64 v[70:71], v[30:31], v[70:71]
	v_fma_f64 v[50:51], v[64:65], v[66:67], v[50:51]
	ds_read2_b64 v[64:67], v74 offset0:20 offset1:21
	s_waitcnt lgkmcnt(0)
	v_fma_f64 v[50:51], v[70:71], v[64:65], v[50:51]
	v_mul_f64 v[64:65], v[16:17], v[68:69]
	v_mul_f64 v[70:71], v[18:19], v[68:69]
	v_mul_f64 v[64:65], v[32:33], v[64:65]
	v_mul_f64 v[70:71], v[34:35], v[70:71]
	v_fma_f64 v[50:51], v[64:65], v[66:67], v[50:51]
	;; [unrolled: 8-line block ×3, first 2 shown]
	ds_read_b64 v[64:65], v74 offset:192
	s_waitcnt lgkmcnt(0)
	v_fma_f64 v[50:51], v[68:69], v[64:65], v[50:51]
	s_cbranch_scc1 .LBB2_34
; %bb.35:                               ;   in Loop: Header=BB2_33 Depth=6
	s_lshl_b64 s[10:11], s[8:9], 13
	s_add_u32 s8, s8, 1
	v_add_co_u32 v30, s1, v61, s10
	v_add_co_ci_u32_e64 v31, null, s11, v62, s1
	s_addc_u32 s9, s9, 0
	s_cmp_eq_u64 s[8:9], 4
	global_store_dwordx2 v[30:31], v[50:51], off
	s_cbranch_scc0 .LBB2_33
; %bb.36:                               ;   in Loop: Header=BB2_32 Depth=5
	s_add_u32 s6, s6, 1
	s_addc_u32 s7, s7, 0
	s_cmp_eq_u64 s[6:7], 4
	s_cbranch_scc0 .LBB2_32
; %bb.37:                               ;   in Loop: Header=BB2_31 Depth=4
	s_add_u32 s2, s2, 1
	s_addc_u32 s3, s3, 0
	s_add_i32 s21, s21, 8
	s_cmp_eq_u64 s[2:3], 4
	s_cbranch_scc0 .LBB2_31
; %bb.38:                               ;   in Loop: Header=BB2_30 Depth=3
	v_add_co_u32 v42, s1, v42, s16
	v_add_co_ci_u32_e64 v43, null, 0, v43, s1
	v_cmp_lt_u64_e64 s1, 3, v[42:43]
	s_or_b32 s20, s1, s20
	s_andn2_b32 exec_lo, exec_lo, s20
	s_cbranch_execnz .LBB2_30
	s_branch .LBB2_27
.LBB2_39:
	s_endpgm
	.section	.rodata,"a",@progbits
	.p2align	6, 0x0
	.amdhsa_kernel _ZN4RAJA34launch_new_reduce_global_fcn_fixedIZN8rajaperf4apps8MASS3DEA17runHipVariantImplILm64ELm1EEEvNS1_9VariantIDEEUlNS_14LaunchContextTINS_3hip33LaunchContextIndicesAndDimsPolicyINS7_14IndicesAndDimsILb0ELb0ELb1ELb0EEEEEEEE_Li64ENS_4expt15ForallParamPackIJEEEEEvT_T1_
		.amdhsa_group_segment_fixed_size 1168
		.amdhsa_private_segment_fixed_size 0
		.amdhsa_kernarg_size 296
		.amdhsa_user_sgpr_count 6
		.amdhsa_user_sgpr_private_segment_buffer 1
		.amdhsa_user_sgpr_dispatch_ptr 0
		.amdhsa_user_sgpr_queue_ptr 0
		.amdhsa_user_sgpr_kernarg_segment_ptr 1
		.amdhsa_user_sgpr_dispatch_id 0
		.amdhsa_user_sgpr_flat_scratch_init 0
		.amdhsa_user_sgpr_private_segment_size 0
		.amdhsa_wavefront_size32 1
		.amdhsa_uses_dynamic_stack 0
		.amdhsa_system_sgpr_private_segment_wavefront_offset 0
		.amdhsa_system_sgpr_workgroup_id_x 1
		.amdhsa_system_sgpr_workgroup_id_y 0
		.amdhsa_system_sgpr_workgroup_id_z 0
		.amdhsa_system_sgpr_workgroup_info 0
		.amdhsa_system_vgpr_workitem_id 2
		.amdhsa_next_free_vgpr 75
		.amdhsa_next_free_sgpr 23
		.amdhsa_reserve_vcc 1
		.amdhsa_reserve_flat_scratch 0
		.amdhsa_float_round_mode_32 0
		.amdhsa_float_round_mode_16_64 0
		.amdhsa_float_denorm_mode_32 3
		.amdhsa_float_denorm_mode_16_64 3
		.amdhsa_dx10_clamp 1
		.amdhsa_ieee_mode 1
		.amdhsa_fp16_overflow 0
		.amdhsa_workgroup_processor_mode 1
		.amdhsa_memory_ordered 1
		.amdhsa_forward_progress 1
		.amdhsa_shared_vgpr_count 0
		.amdhsa_exception_fp_ieee_invalid_op 0
		.amdhsa_exception_fp_denorm_src 0
		.amdhsa_exception_fp_ieee_div_zero 0
		.amdhsa_exception_fp_ieee_overflow 0
		.amdhsa_exception_fp_ieee_underflow 0
		.amdhsa_exception_fp_ieee_inexact 0
		.amdhsa_exception_int_div_zero 0
	.end_amdhsa_kernel
	.section	.text._ZN4RAJA34launch_new_reduce_global_fcn_fixedIZN8rajaperf4apps8MASS3DEA17runHipVariantImplILm64ELm1EEEvNS1_9VariantIDEEUlNS_14LaunchContextTINS_3hip33LaunchContextIndicesAndDimsPolicyINS7_14IndicesAndDimsILb0ELb0ELb1ELb0EEEEEEEE_Li64ENS_4expt15ForallParamPackIJEEEEEvT_T1_,"axG",@progbits,_ZN4RAJA34launch_new_reduce_global_fcn_fixedIZN8rajaperf4apps8MASS3DEA17runHipVariantImplILm64ELm1EEEvNS1_9VariantIDEEUlNS_14LaunchContextTINS_3hip33LaunchContextIndicesAndDimsPolicyINS7_14IndicesAndDimsILb0ELb0ELb1ELb0EEEEEEEE_Li64ENS_4expt15ForallParamPackIJEEEEEvT_T1_,comdat
.Lfunc_end2:
	.size	_ZN4RAJA34launch_new_reduce_global_fcn_fixedIZN8rajaperf4apps8MASS3DEA17runHipVariantImplILm64ELm1EEEvNS1_9VariantIDEEUlNS_14LaunchContextTINS_3hip33LaunchContextIndicesAndDimsPolicyINS7_14IndicesAndDimsILb0ELb0ELb1ELb0EEEEEEEE_Li64ENS_4expt15ForallParamPackIJEEEEEvT_T1_, .Lfunc_end2-_ZN4RAJA34launch_new_reduce_global_fcn_fixedIZN8rajaperf4apps8MASS3DEA17runHipVariantImplILm64ELm1EEEvNS1_9VariantIDEEUlNS_14LaunchContextTINS_3hip33LaunchContextIndicesAndDimsPolicyINS7_14IndicesAndDimsILb0ELb0ELb1ELb0EEEEEEEE_Li64ENS_4expt15ForallParamPackIJEEEEEvT_T1_
                                        ; -- End function
	.set _ZN4RAJA34launch_new_reduce_global_fcn_fixedIZN8rajaperf4apps8MASS3DEA17runHipVariantImplILm64ELm1EEEvNS1_9VariantIDEEUlNS_14LaunchContextTINS_3hip33LaunchContextIndicesAndDimsPolicyINS7_14IndicesAndDimsILb0ELb0ELb1ELb0EEEEEEEE_Li64ENS_4expt15ForallParamPackIJEEEEEvT_T1_.num_vgpr, 75
	.set _ZN4RAJA34launch_new_reduce_global_fcn_fixedIZN8rajaperf4apps8MASS3DEA17runHipVariantImplILm64ELm1EEEvNS1_9VariantIDEEUlNS_14LaunchContextTINS_3hip33LaunchContextIndicesAndDimsPolicyINS7_14IndicesAndDimsILb0ELb0ELb1ELb0EEEEEEEE_Li64ENS_4expt15ForallParamPackIJEEEEEvT_T1_.num_agpr, 0
	.set _ZN4RAJA34launch_new_reduce_global_fcn_fixedIZN8rajaperf4apps8MASS3DEA17runHipVariantImplILm64ELm1EEEvNS1_9VariantIDEEUlNS_14LaunchContextTINS_3hip33LaunchContextIndicesAndDimsPolicyINS7_14IndicesAndDimsILb0ELb0ELb1ELb0EEEEEEEE_Li64ENS_4expt15ForallParamPackIJEEEEEvT_T1_.numbered_sgpr, 23
	.set _ZN4RAJA34launch_new_reduce_global_fcn_fixedIZN8rajaperf4apps8MASS3DEA17runHipVariantImplILm64ELm1EEEvNS1_9VariantIDEEUlNS_14LaunchContextTINS_3hip33LaunchContextIndicesAndDimsPolicyINS7_14IndicesAndDimsILb0ELb0ELb1ELb0EEEEEEEE_Li64ENS_4expt15ForallParamPackIJEEEEEvT_T1_.num_named_barrier, 0
	.set _ZN4RAJA34launch_new_reduce_global_fcn_fixedIZN8rajaperf4apps8MASS3DEA17runHipVariantImplILm64ELm1EEEvNS1_9VariantIDEEUlNS_14LaunchContextTINS_3hip33LaunchContextIndicesAndDimsPolicyINS7_14IndicesAndDimsILb0ELb0ELb1ELb0EEEEEEEE_Li64ENS_4expt15ForallParamPackIJEEEEEvT_T1_.private_seg_size, 0
	.set _ZN4RAJA34launch_new_reduce_global_fcn_fixedIZN8rajaperf4apps8MASS3DEA17runHipVariantImplILm64ELm1EEEvNS1_9VariantIDEEUlNS_14LaunchContextTINS_3hip33LaunchContextIndicesAndDimsPolicyINS7_14IndicesAndDimsILb0ELb0ELb1ELb0EEEEEEEE_Li64ENS_4expt15ForallParamPackIJEEEEEvT_T1_.uses_vcc, 1
	.set _ZN4RAJA34launch_new_reduce_global_fcn_fixedIZN8rajaperf4apps8MASS3DEA17runHipVariantImplILm64ELm1EEEvNS1_9VariantIDEEUlNS_14LaunchContextTINS_3hip33LaunchContextIndicesAndDimsPolicyINS7_14IndicesAndDimsILb0ELb0ELb1ELb0EEEEEEEE_Li64ENS_4expt15ForallParamPackIJEEEEEvT_T1_.uses_flat_scratch, 0
	.set _ZN4RAJA34launch_new_reduce_global_fcn_fixedIZN8rajaperf4apps8MASS3DEA17runHipVariantImplILm64ELm1EEEvNS1_9VariantIDEEUlNS_14LaunchContextTINS_3hip33LaunchContextIndicesAndDimsPolicyINS7_14IndicesAndDimsILb0ELb0ELb1ELb0EEEEEEEE_Li64ENS_4expt15ForallParamPackIJEEEEEvT_T1_.has_dyn_sized_stack, 0
	.set _ZN4RAJA34launch_new_reduce_global_fcn_fixedIZN8rajaperf4apps8MASS3DEA17runHipVariantImplILm64ELm1EEEvNS1_9VariantIDEEUlNS_14LaunchContextTINS_3hip33LaunchContextIndicesAndDimsPolicyINS7_14IndicesAndDimsILb0ELb0ELb1ELb0EEEEEEEE_Li64ENS_4expt15ForallParamPackIJEEEEEvT_T1_.has_recursion, 0
	.set _ZN4RAJA34launch_new_reduce_global_fcn_fixedIZN8rajaperf4apps8MASS3DEA17runHipVariantImplILm64ELm1EEEvNS1_9VariantIDEEUlNS_14LaunchContextTINS_3hip33LaunchContextIndicesAndDimsPolicyINS7_14IndicesAndDimsILb0ELb0ELb1ELb0EEEEEEEE_Li64ENS_4expt15ForallParamPackIJEEEEEvT_T1_.has_indirect_call, 0
	.section	.AMDGPU.csdata,"",@progbits
; Kernel info:
; codeLenInByte = 2548
; TotalNumSgprs: 25
; NumVgprs: 75
; ScratchSize: 0
; MemoryBound: 0
; FloatMode: 240
; IeeeMode: 1
; LDSByteSize: 1168 bytes/workgroup (compile time only)
; SGPRBlocks: 0
; VGPRBlocks: 9
; NumSGPRsForWavesPerEU: 25
; NumVGPRsForWavesPerEU: 75
; Occupancy: 12
; WaveLimiterHint : 0
; COMPUTE_PGM_RSRC2:SCRATCH_EN: 0
; COMPUTE_PGM_RSRC2:USER_SGPR: 6
; COMPUTE_PGM_RSRC2:TRAP_HANDLER: 0
; COMPUTE_PGM_RSRC2:TGID_X_EN: 1
; COMPUTE_PGM_RSRC2:TGID_Y_EN: 0
; COMPUTE_PGM_RSRC2:TGID_Z_EN: 0
; COMPUTE_PGM_RSRC2:TIDIG_COMP_CNT: 2
	.section	.AMDGPU.gpr_maximums,"",@progbits
	.set amdgpu.max_num_vgpr, 0
	.set amdgpu.max_num_agpr, 0
	.set amdgpu.max_num_sgpr, 0
	.section	.AMDGPU.csdata,"",@progbits
	.type	__hip_cuid_deb71b5462b083b6,@object ; @__hip_cuid_deb71b5462b083b6
	.section	.bss,"aw",@nobits
	.globl	__hip_cuid_deb71b5462b083b6
__hip_cuid_deb71b5462b083b6:
	.byte	0                               ; 0x0
	.size	__hip_cuid_deb71b5462b083b6, 1

	.ident	"AMD clang version 22.0.0git (https://github.com/RadeonOpenCompute/llvm-project roc-7.2.4 26084 f58b06dce1f9c15707c5f808fd002e18c2accf7e)"
	.section	".note.GNU-stack","",@progbits
	.addrsig
	.addrsig_sym __hip_cuid_deb71b5462b083b6
	.amdgpu_metadata
---
amdhsa.kernels:
  - .args:
      - .address_space:  global
        .offset:         0
        .size:           8
        .value_kind:     global_buffer
      - .address_space:  global
        .offset:         8
        .size:           8
        .value_kind:     global_buffer
      - .address_space:  global
        .offset:         16
        .size:           8
        .value_kind:     global_buffer
    .group_segment_fixed_size: 1168
    .kernarg_segment_align: 8
    .kernarg_segment_size: 24
    .language:       OpenCL C
    .language_version:
      - 2
      - 0
    .max_flat_workgroup_size: 64
    .name:           _ZN8rajaperf4apps8Mass3DEAILm64EEEvPdS2_S2_
    .private_segment_fixed_size: 0
    .sgpr_count:     16
    .sgpr_spill_count: 0
    .symbol:         _ZN8rajaperf4apps8Mass3DEAILm64EEEvPdS2_S2_.kd
    .uniform_work_group_size: 1
    .uses_dynamic_stack: false
    .vgpr_count:     92
    .vgpr_spill_count: 0
    .wavefront_size: 32
    .workgroup_processor_mode: 1
  - .args:
      - .offset:         0
        .size:           32
        .value_kind:     by_value
      - .offset:         32
        .size:           1
        .value_kind:     by_value
    .group_segment_fixed_size: 1168
    .kernarg_segment_align: 8
    .kernarg_segment_size: 36
    .language:       OpenCL C
    .language_version:
      - 2
      - 0
    .max_flat_workgroup_size: 64
    .name:           _ZN4RAJA34launch_new_reduce_global_fcn_fixedIZN8rajaperf4apps8MASS3DEA17runHipVariantImplILm64ELm0EEEvNS1_9VariantIDEEUlNS_14LaunchContextTINS_3hip33LaunchContextIndicesAndDimsPolicyINS7_14IndicesAndDimsILb0ELb0ELb0ELb0EEEEEEEE_Li64ENS_4expt15ForallParamPackIJEEEEEvT_T1_
    .private_segment_fixed_size: 0
    .sgpr_count:     18
    .sgpr_spill_count: 0
    .symbol:         _ZN4RAJA34launch_new_reduce_global_fcn_fixedIZN8rajaperf4apps8MASS3DEA17runHipVariantImplILm64ELm0EEEvNS1_9VariantIDEEUlNS_14LaunchContextTINS_3hip33LaunchContextIndicesAndDimsPolicyINS7_14IndicesAndDimsILb0ELb0ELb0ELb0EEEEEEEE_Li64ENS_4expt15ForallParamPackIJEEEEEvT_T1_.kd
    .uniform_work_group_size: 1
    .uses_dynamic_stack: false
    .vgpr_count:     78
    .vgpr_spill_count: 0
    .wavefront_size: 32
    .workgroup_processor_mode: 1
  - .args:
      - .offset:         0
        .size:           32
        .value_kind:     by_value
      - .offset:         32
        .size:           1
        .value_kind:     by_value
      - .offset:         40
        .size:           4
        .value_kind:     hidden_block_count_x
      - .offset:         44
        .size:           4
        .value_kind:     hidden_block_count_y
      - .offset:         48
        .size:           4
        .value_kind:     hidden_block_count_z
      - .offset:         52
        .size:           2
        .value_kind:     hidden_group_size_x
      - .offset:         54
        .size:           2
        .value_kind:     hidden_group_size_y
      - .offset:         56
        .size:           2
        .value_kind:     hidden_group_size_z
      - .offset:         58
        .size:           2
        .value_kind:     hidden_remainder_x
      - .offset:         60
        .size:           2
        .value_kind:     hidden_remainder_y
      - .offset:         62
        .size:           2
        .value_kind:     hidden_remainder_z
      - .offset:         80
        .size:           8
        .value_kind:     hidden_global_offset_x
      - .offset:         88
        .size:           8
        .value_kind:     hidden_global_offset_y
      - .offset:         96
        .size:           8
        .value_kind:     hidden_global_offset_z
      - .offset:         104
        .size:           2
        .value_kind:     hidden_grid_dims
    .group_segment_fixed_size: 1168
    .kernarg_segment_align: 8
    .kernarg_segment_size: 296
    .language:       OpenCL C
    .language_version:
      - 2
      - 0
    .max_flat_workgroup_size: 64
    .name:           _ZN4RAJA34launch_new_reduce_global_fcn_fixedIZN8rajaperf4apps8MASS3DEA17runHipVariantImplILm64ELm1EEEvNS1_9VariantIDEEUlNS_14LaunchContextTINS_3hip33LaunchContextIndicesAndDimsPolicyINS7_14IndicesAndDimsILb0ELb0ELb1ELb0EEEEEEEE_Li64ENS_4expt15ForallParamPackIJEEEEEvT_T1_
    .private_segment_fixed_size: 0
    .sgpr_count:     25
    .sgpr_spill_count: 0
    .symbol:         _ZN4RAJA34launch_new_reduce_global_fcn_fixedIZN8rajaperf4apps8MASS3DEA17runHipVariantImplILm64ELm1EEEvNS1_9VariantIDEEUlNS_14LaunchContextTINS_3hip33LaunchContextIndicesAndDimsPolicyINS7_14IndicesAndDimsILb0ELb0ELb1ELb0EEEEEEEE_Li64ENS_4expt15ForallParamPackIJEEEEEvT_T1_.kd
    .uniform_work_group_size: 1
    .uses_dynamic_stack: false
    .vgpr_count:     75
    .vgpr_spill_count: 0
    .wavefront_size: 32
    .workgroup_processor_mode: 1
amdhsa.target:   amdgcn-amd-amdhsa--gfx1030
amdhsa.version:
  - 1
  - 2
...

	.end_amdgpu_metadata
